;; amdgpu-corpus repo=LLNL/RAJAPerf kind=compiled arch=gfx1100 opt=O3
	.text
	.amdgcn_target "amdgcn-amd-amdhsa--gfx1100"
	.amdhsa_code_object_version 6
	.section	.text._ZN8rajaperf9polybench14poly_heat_3D_1ILm32ELm8ELm1EEEvPdS2_l,"axG",@progbits,_ZN8rajaperf9polybench14poly_heat_3D_1ILm32ELm8ELm1EEEvPdS2_l,comdat
	.protected	_ZN8rajaperf9polybench14poly_heat_3D_1ILm32ELm8ELm1EEEvPdS2_l ; -- Begin function _ZN8rajaperf9polybench14poly_heat_3D_1ILm32ELm8ELm1EEEvPdS2_l
	.globl	_ZN8rajaperf9polybench14poly_heat_3D_1ILm32ELm8ELm1EEEvPdS2_l
	.p2align	8
	.type	_ZN8rajaperf9polybench14poly_heat_3D_1ILm32ELm8ELm1EEEvPdS2_l,@function
_ZN8rajaperf9polybench14poly_heat_3D_1ILm32ELm8ELm1EEEvPdS2_l: ; @_ZN8rajaperf9polybench14poly_heat_3D_1ILm32ELm8ELm1EEEvPdS2_l
; %bb.0:
	s_load_b64 s[4:5], s[0:1], 0x10
	v_bfe_u32 v1, v0, 10, 10
	s_mov_b32 s7, 0
	v_and_b32_e32 v2, 0x3ff, v0
	s_add_i32 s6, s15, 1
	s_mov_b32 s15, s7
	v_add_nc_u32_e32 v0, 1, v1
	s_lshl_b64 s[8:9], s[14:15], 3
	v_add_nc_u32_e32 v3, 1, v2
	s_mov_b32 s2, s13
	s_mov_b32 s3, s7
	v_add_co_u32 v0, s8, s8, v0
	s_delay_alu instid0(VALU_DEP_1) | instskip(SKIP_1) | instid1(SALU_CYCLE_1)
	v_add_co_ci_u32_e64 v1, null, s9, 0, s8
	s_lshl_b64 s[8:9], s[2:3], 5
	v_add_co_u32 v3, s2, s8, v3
	s_delay_alu instid0(VALU_DEP_1) | instskip(SKIP_3) | instid1(SALU_CYCLE_1)
	v_add_co_ci_u32_e64 v4, null, s9, 0, s2
	s_waitcnt lgkmcnt(0)
	s_add_u32 s10, s4, -1
	s_addc_u32 s11, s5, -1
	v_cmp_gt_i64_e32 vcc_lo, s[10:11], v[0:1]
	v_cmp_gt_i64_e64 s2, s[10:11], v[3:4]
	v_cmp_gt_i64_e64 s3, s[10:11], s[6:7]
	s_delay_alu instid0(VALU_DEP_2)
	s_and_b32 s2, vcc_lo, s2
	s_delay_alu instid0(VALU_DEP_1) | instid1(SALU_CYCLE_1)
	s_and_b32 s2, s2, s3
	s_delay_alu instid0(SALU_CYCLE_1)
	s_and_saveexec_b32 s3, s2
	s_cbranch_execz .LBB0_2
; %bb.1:
	s_add_u32 s7, s6, 1
	s_mul_i32 s2, s6, s5
	s_mul_hi_u32 s3, s6, s4
	s_mul_i32 s6, s6, s4
	s_addc_u32 s10, 0, 0
	s_add_i32 s11, s3, s2
	v_add_co_u32 v16, vcc_lo, s6, v0
	s_load_b128 s[0:3], s[0:1], 0x0
	v_add_co_ci_u32_e32 v17, vcc_lo, s11, v1, vcc_lo
	s_delay_alu instid0(VALU_DEP_2) | instskip(SKIP_1) | instid1(VALU_DEP_3)
	v_mad_u64_u32 v[6:7], null, v16, s4, 0
	v_mul_lo_u32 v15, s5, v16
	v_mul_lo_u32 v14, s4, v17
	v_add_co_u32 v8, s8, s8, v2
	s_delay_alu instid0(VALU_DEP_1) | instskip(SKIP_3) | instid1(VALU_DEP_4)
	v_add_co_ci_u32_e64 v9, null, s9, 0, s8
	v_mad_u64_u32 v[2:3], null, s4, v16, s[4:5]
	v_mad_u64_u32 v[10:11], null, s7, s4, v[0:1]
	v_add3_u32 v7, v7, v15, v14
	v_lshlrev_b64 v[4:5], 3, v[8:9]
	s_mul_i32 s10, s10, s4
	s_mul_i32 s7, s7, s5
	s_delay_alu instid0(VALU_DEP_4)
	v_add3_u32 v3, v15, v3, v14
	v_lshlrev_b64 v[12:13], 3, v[6:7]
	v_add3_u32 v11, s7, s10, v11
	s_waitcnt lgkmcnt(0)
	v_add_co_u32 v18, vcc_lo, s0, v4
	v_add_co_ci_u32_e32 v19, vcc_lo, s1, v5, vcc_lo
	v_lshlrev_b64 v[2:3], 3, v[2:3]
	s_delay_alu instid0(VALU_DEP_3) | instskip(NEXT) | instid1(VALU_DEP_3)
	v_add_co_u32 v12, vcc_lo, v18, v12
	v_add_co_ci_u32_e32 v13, vcc_lo, v19, v13, vcc_lo
	v_mul_lo_u32 v22, v11, s4
	s_delay_alu instid0(VALU_DEP_4)
	v_add_co_u32 v14, vcc_lo, v18, v2
	v_add_co_ci_u32_e32 v15, vcc_lo, v19, v3, vcc_lo
	s_clause 0x1
	global_load_b128 v[2:5], v[12:13], off
	global_load_b64 v[14:15], v[14:15], off offset:8
	v_add_co_u32 v20, vcc_lo, v16, -1
	v_add_co_ci_u32_e32 v21, vcc_lo, -1, v17, vcc_lo
	v_mul_lo_u32 v23, v10, s5
	v_mad_u64_u32 v[16:17], null, v10, s4, 0
	s_delay_alu instid0(VALU_DEP_3) | instskip(SKIP_4) | instid1(VALU_DEP_4)
	v_mul_lo_u32 v21, v21, s4
	v_mul_lo_u32 v24, v20, s5
	v_mad_u64_u32 v[10:11], null, v20, s4, 0
	s_sub_u32 s0, s6, s4
	s_subb_u32 s1, s11, s5
	v_add3_u32 v17, v17, v23, v22
	s_delay_alu instid0(VALU_DEP_2) | instskip(NEXT) | instid1(VALU_DEP_2)
	v_add3_u32 v11, v11, v24, v21
	v_lshlrev_b64 v[16:17], 3, v[16:17]
	s_delay_alu instid0(VALU_DEP_2) | instskip(NEXT) | instid1(VALU_DEP_2)
	v_lshlrev_b64 v[10:11], 3, v[10:11]
	v_add_co_u32 v16, vcc_lo, v18, v16
	s_delay_alu instid0(VALU_DEP_3) | instskip(NEXT) | instid1(VALU_DEP_3)
	v_add_co_ci_u32_e32 v17, vcc_lo, v19, v17, vcc_lo
	v_add_co_u32 v10, vcc_lo, v18, v10
	s_delay_alu instid0(VALU_DEP_4)
	v_add_co_ci_u32_e32 v11, vcc_lo, v19, v11, vcc_lo
	s_clause 0x1
	global_load_b64 v[16:17], v[16:17], off offset:8
	global_load_b64 v[10:11], v[10:11], off offset:8
	v_add_co_u32 v20, vcc_lo, s0, v0
	v_add_co_ci_u32_e32 v21, vcc_lo, s1, v1, vcc_lo
	s_delay_alu instid0(VALU_DEP_2) | instskip(SKIP_1) | instid1(VALU_DEP_3)
	v_mul_lo_u32 v22, v20, s5
	v_mad_u64_u32 v[0:1], null, v20, s4, 0
	v_mul_lo_u32 v20, v21, s4
	s_delay_alu instid0(VALU_DEP_1) | instskip(NEXT) | instid1(VALU_DEP_1)
	v_add3_u32 v1, v1, v22, v20
	v_lshlrev_b64 v[0:1], 3, v[0:1]
	s_delay_alu instid0(VALU_DEP_1) | instskip(NEXT) | instid1(VALU_DEP_2)
	v_add_co_u32 v0, vcc_lo, v18, v0
	v_add_co_ci_u32_e32 v1, vcc_lo, v19, v1, vcc_lo
	s_clause 0x1
	global_load_b64 v[0:1], v[0:1], off offset:8
	global_load_b64 v[12:13], v[12:13], off offset:16
	s_waitcnt vmcnt(4)
	v_fma_f64 v[14:15], v[4:5], -2.0, v[14:15]
	s_waitcnt vmcnt(3)
	v_fma_f64 v[16:17], v[4:5], -2.0, v[16:17]
	s_waitcnt vmcnt(2)
	s_delay_alu instid0(VALU_DEP_2) | instskip(SKIP_2) | instid1(VALU_DEP_3)
	v_add_f64 v[10:11], v[14:15], v[10:11]
	s_waitcnt vmcnt(0)
	v_fma_f64 v[12:13], v[4:5], -2.0, v[12:13]
	v_add_f64 v[0:1], v[0:1], v[16:17]
	s_delay_alu instid0(VALU_DEP_3) | instskip(NEXT) | instid1(VALU_DEP_3)
	v_ldexp_f64 v[10:11], v[10:11], -3
	v_add_f64 v[2:3], v[12:13], v[2:3]
	s_delay_alu instid0(VALU_DEP_2) | instskip(NEXT) | instid1(VALU_DEP_1)
	v_fma_f64 v[0:1], 0x3fc00000, v[0:1], v[10:11]
	v_fma_f64 v[0:1], 0x3fc00000, v[2:3], v[0:1]
	v_add_co_u32 v2, vcc_lo, v6, v8
	v_add_co_ci_u32_e32 v3, vcc_lo, v7, v9, vcc_lo
	s_delay_alu instid0(VALU_DEP_1) | instskip(NEXT) | instid1(VALU_DEP_1)
	v_lshlrev_b64 v[2:3], 3, v[2:3]
	v_add_co_u32 v2, vcc_lo, s2, v2
	s_delay_alu instid0(VALU_DEP_2)
	v_add_co_ci_u32_e32 v3, vcc_lo, s3, v3, vcc_lo
	v_add_f64 v[0:1], v[4:5], v[0:1]
	global_store_b64 v[2:3], v[0:1], off offset:8
.LBB0_2:
	s_nop 0
	s_sendmsg sendmsg(MSG_DEALLOC_VGPRS)
	s_endpgm
	.section	.rodata,"a",@progbits
	.p2align	6, 0x0
	.amdhsa_kernel _ZN8rajaperf9polybench14poly_heat_3D_1ILm32ELm8ELm1EEEvPdS2_l
		.amdhsa_group_segment_fixed_size 0
		.amdhsa_private_segment_fixed_size 0
		.amdhsa_kernarg_size 24
		.amdhsa_user_sgpr_count 13
		.amdhsa_user_sgpr_dispatch_ptr 0
		.amdhsa_user_sgpr_queue_ptr 0
		.amdhsa_user_sgpr_kernarg_segment_ptr 1
		.amdhsa_user_sgpr_dispatch_id 0
		.amdhsa_user_sgpr_private_segment_size 0
		.amdhsa_wavefront_size32 1
		.amdhsa_uses_dynamic_stack 0
		.amdhsa_enable_private_segment 0
		.amdhsa_system_sgpr_workgroup_id_x 1
		.amdhsa_system_sgpr_workgroup_id_y 1
		.amdhsa_system_sgpr_workgroup_id_z 1
		.amdhsa_system_sgpr_workgroup_info 0
		.amdhsa_system_vgpr_workitem_id 1
		.amdhsa_next_free_vgpr 25
		.amdhsa_next_free_sgpr 16
		.amdhsa_reserve_vcc 1
		.amdhsa_float_round_mode_32 0
		.amdhsa_float_round_mode_16_64 0
		.amdhsa_float_denorm_mode_32 3
		.amdhsa_float_denorm_mode_16_64 3
		.amdhsa_dx10_clamp 1
		.amdhsa_ieee_mode 1
		.amdhsa_fp16_overflow 0
		.amdhsa_workgroup_processor_mode 1
		.amdhsa_memory_ordered 1
		.amdhsa_forward_progress 0
		.amdhsa_shared_vgpr_count 0
		.amdhsa_exception_fp_ieee_invalid_op 0
		.amdhsa_exception_fp_denorm_src 0
		.amdhsa_exception_fp_ieee_div_zero 0
		.amdhsa_exception_fp_ieee_overflow 0
		.amdhsa_exception_fp_ieee_underflow 0
		.amdhsa_exception_fp_ieee_inexact 0
		.amdhsa_exception_int_div_zero 0
	.end_amdhsa_kernel
	.section	.text._ZN8rajaperf9polybench14poly_heat_3D_1ILm32ELm8ELm1EEEvPdS2_l,"axG",@progbits,_ZN8rajaperf9polybench14poly_heat_3D_1ILm32ELm8ELm1EEEvPdS2_l,comdat
.Lfunc_end0:
	.size	_ZN8rajaperf9polybench14poly_heat_3D_1ILm32ELm8ELm1EEEvPdS2_l, .Lfunc_end0-_ZN8rajaperf9polybench14poly_heat_3D_1ILm32ELm8ELm1EEEvPdS2_l
                                        ; -- End function
	.section	.AMDGPU.csdata,"",@progbits
; Kernel info:
; codeLenInByte = 832
; NumSgprs: 18
; NumVgprs: 25
; ScratchSize: 0
; MemoryBound: 0
; FloatMode: 240
; IeeeMode: 1
; LDSByteSize: 0 bytes/workgroup (compile time only)
; SGPRBlocks: 2
; VGPRBlocks: 3
; NumSGPRsForWavesPerEU: 18
; NumVGPRsForWavesPerEU: 25
; Occupancy: 16
; WaveLimiterHint : 0
; COMPUTE_PGM_RSRC2:SCRATCH_EN: 0
; COMPUTE_PGM_RSRC2:USER_SGPR: 13
; COMPUTE_PGM_RSRC2:TRAP_HANDLER: 0
; COMPUTE_PGM_RSRC2:TGID_X_EN: 1
; COMPUTE_PGM_RSRC2:TGID_Y_EN: 1
; COMPUTE_PGM_RSRC2:TGID_Z_EN: 1
; COMPUTE_PGM_RSRC2:TIDIG_COMP_CNT: 1
	.section	.text._ZN8rajaperf9polybench14poly_heat_3D_2ILm32ELm8ELm1EEEvPdS2_l,"axG",@progbits,_ZN8rajaperf9polybench14poly_heat_3D_2ILm32ELm8ELm1EEEvPdS2_l,comdat
	.protected	_ZN8rajaperf9polybench14poly_heat_3D_2ILm32ELm8ELm1EEEvPdS2_l ; -- Begin function _ZN8rajaperf9polybench14poly_heat_3D_2ILm32ELm8ELm1EEEvPdS2_l
	.globl	_ZN8rajaperf9polybench14poly_heat_3D_2ILm32ELm8ELm1EEEvPdS2_l
	.p2align	8
	.type	_ZN8rajaperf9polybench14poly_heat_3D_2ILm32ELm8ELm1EEEvPdS2_l,@function
_ZN8rajaperf9polybench14poly_heat_3D_2ILm32ELm8ELm1EEEvPdS2_l: ; @_ZN8rajaperf9polybench14poly_heat_3D_2ILm32ELm8ELm1EEEvPdS2_l
; %bb.0:
	s_load_b64 s[4:5], s[0:1], 0x10
	v_bfe_u32 v1, v0, 10, 10
	s_mov_b32 s7, 0
	v_and_b32_e32 v2, 0x3ff, v0
	s_add_i32 s6, s15, 1
	s_mov_b32 s15, s7
	v_add_nc_u32_e32 v0, 1, v1
	s_lshl_b64 s[8:9], s[14:15], 3
	v_add_nc_u32_e32 v3, 1, v2
	s_mov_b32 s2, s13
	s_mov_b32 s3, s7
	v_add_co_u32 v0, s8, s8, v0
	s_delay_alu instid0(VALU_DEP_1) | instskip(SKIP_1) | instid1(SALU_CYCLE_1)
	v_add_co_ci_u32_e64 v1, null, s9, 0, s8
	s_lshl_b64 s[8:9], s[2:3], 5
	v_add_co_u32 v3, s2, s8, v3
	s_delay_alu instid0(VALU_DEP_1) | instskip(SKIP_3) | instid1(SALU_CYCLE_1)
	v_add_co_ci_u32_e64 v4, null, s9, 0, s2
	s_waitcnt lgkmcnt(0)
	s_add_u32 s10, s4, -1
	s_addc_u32 s11, s5, -1
	v_cmp_gt_i64_e32 vcc_lo, s[10:11], v[0:1]
	v_cmp_gt_i64_e64 s2, s[10:11], v[3:4]
	v_cmp_gt_i64_e64 s3, s[10:11], s[6:7]
	s_delay_alu instid0(VALU_DEP_2)
	s_and_b32 s2, vcc_lo, s2
	s_delay_alu instid0(VALU_DEP_1) | instid1(SALU_CYCLE_1)
	s_and_b32 s2, s2, s3
	s_delay_alu instid0(SALU_CYCLE_1)
	s_and_saveexec_b32 s3, s2
	s_cbranch_execz .LBB1_2
; %bb.1:
	s_add_u32 s7, s6, 1
	s_mul_i32 s2, s6, s5
	s_mul_hi_u32 s3, s6, s4
	s_mul_i32 s6, s6, s4
	s_addc_u32 s10, 0, 0
	s_add_i32 s11, s3, s2
	v_add_co_u32 v16, vcc_lo, s6, v0
	s_load_b128 s[0:3], s[0:1], 0x0
	v_add_co_ci_u32_e32 v17, vcc_lo, s11, v1, vcc_lo
	s_delay_alu instid0(VALU_DEP_2) | instskip(SKIP_1) | instid1(VALU_DEP_3)
	v_mad_u64_u32 v[6:7], null, v16, s4, 0
	v_mul_lo_u32 v15, s5, v16
	v_mul_lo_u32 v14, s4, v17
	v_add_co_u32 v8, s8, s8, v2
	s_delay_alu instid0(VALU_DEP_1) | instskip(SKIP_3) | instid1(VALU_DEP_4)
	v_add_co_ci_u32_e64 v9, null, s9, 0, s8
	v_mad_u64_u32 v[2:3], null, s4, v16, s[4:5]
	v_mad_u64_u32 v[10:11], null, s7, s4, v[0:1]
	v_add3_u32 v7, v7, v15, v14
	v_lshlrev_b64 v[4:5], 3, v[8:9]
	s_mul_i32 s10, s10, s4
	s_mul_i32 s7, s7, s5
	s_delay_alu instid0(VALU_DEP_4)
	v_add3_u32 v3, v15, v3, v14
	v_lshlrev_b64 v[12:13], 3, v[6:7]
	v_add3_u32 v11, s7, s10, v11
	s_waitcnt lgkmcnt(0)
	v_add_co_u32 v18, vcc_lo, s2, v4
	v_add_co_ci_u32_e32 v19, vcc_lo, s3, v5, vcc_lo
	v_lshlrev_b64 v[2:3], 3, v[2:3]
	s_delay_alu instid0(VALU_DEP_3) | instskip(NEXT) | instid1(VALU_DEP_3)
	v_add_co_u32 v12, vcc_lo, v18, v12
	v_add_co_ci_u32_e32 v13, vcc_lo, v19, v13, vcc_lo
	v_mul_lo_u32 v22, v11, s4
	s_delay_alu instid0(VALU_DEP_4)
	v_add_co_u32 v14, vcc_lo, v18, v2
	v_add_co_ci_u32_e32 v15, vcc_lo, v19, v3, vcc_lo
	s_clause 0x1
	global_load_b128 v[2:5], v[12:13], off
	global_load_b64 v[14:15], v[14:15], off offset:8
	v_add_co_u32 v20, vcc_lo, v16, -1
	v_add_co_ci_u32_e32 v21, vcc_lo, -1, v17, vcc_lo
	v_mul_lo_u32 v23, v10, s5
	v_mad_u64_u32 v[16:17], null, v10, s4, 0
	s_delay_alu instid0(VALU_DEP_3) | instskip(SKIP_4) | instid1(VALU_DEP_4)
	v_mul_lo_u32 v21, v21, s4
	v_mul_lo_u32 v24, v20, s5
	v_mad_u64_u32 v[10:11], null, v20, s4, 0
	s_sub_u32 s2, s6, s4
	s_subb_u32 s3, s11, s5
	v_add3_u32 v17, v17, v23, v22
	s_delay_alu instid0(VALU_DEP_2) | instskip(NEXT) | instid1(VALU_DEP_2)
	v_add3_u32 v11, v11, v24, v21
	v_lshlrev_b64 v[16:17], 3, v[16:17]
	s_delay_alu instid0(VALU_DEP_2) | instskip(NEXT) | instid1(VALU_DEP_2)
	v_lshlrev_b64 v[10:11], 3, v[10:11]
	v_add_co_u32 v16, vcc_lo, v18, v16
	s_delay_alu instid0(VALU_DEP_3) | instskip(NEXT) | instid1(VALU_DEP_3)
	v_add_co_ci_u32_e32 v17, vcc_lo, v19, v17, vcc_lo
	v_add_co_u32 v10, vcc_lo, v18, v10
	s_delay_alu instid0(VALU_DEP_4)
	v_add_co_ci_u32_e32 v11, vcc_lo, v19, v11, vcc_lo
	s_clause 0x1
	global_load_b64 v[16:17], v[16:17], off offset:8
	global_load_b64 v[10:11], v[10:11], off offset:8
	v_add_co_u32 v20, vcc_lo, s2, v0
	v_add_co_ci_u32_e32 v21, vcc_lo, s3, v1, vcc_lo
	s_delay_alu instid0(VALU_DEP_2) | instskip(SKIP_1) | instid1(VALU_DEP_3)
	v_mul_lo_u32 v22, v20, s5
	v_mad_u64_u32 v[0:1], null, v20, s4, 0
	v_mul_lo_u32 v20, v21, s4
	s_delay_alu instid0(VALU_DEP_1) | instskip(NEXT) | instid1(VALU_DEP_1)
	v_add3_u32 v1, v1, v22, v20
	v_lshlrev_b64 v[0:1], 3, v[0:1]
	s_delay_alu instid0(VALU_DEP_1) | instskip(NEXT) | instid1(VALU_DEP_2)
	v_add_co_u32 v0, vcc_lo, v18, v0
	v_add_co_ci_u32_e32 v1, vcc_lo, v19, v1, vcc_lo
	s_clause 0x1
	global_load_b64 v[0:1], v[0:1], off offset:8
	global_load_b64 v[12:13], v[12:13], off offset:16
	s_waitcnt vmcnt(4)
	v_fma_f64 v[14:15], v[4:5], -2.0, v[14:15]
	s_waitcnt vmcnt(3)
	v_fma_f64 v[16:17], v[4:5], -2.0, v[16:17]
	s_waitcnt vmcnt(2)
	s_delay_alu instid0(VALU_DEP_2) | instskip(SKIP_2) | instid1(VALU_DEP_3)
	v_add_f64 v[10:11], v[14:15], v[10:11]
	s_waitcnt vmcnt(0)
	v_fma_f64 v[12:13], v[4:5], -2.0, v[12:13]
	v_add_f64 v[0:1], v[0:1], v[16:17]
	s_delay_alu instid0(VALU_DEP_3) | instskip(NEXT) | instid1(VALU_DEP_3)
	v_ldexp_f64 v[10:11], v[10:11], -3
	v_add_f64 v[2:3], v[12:13], v[2:3]
	s_delay_alu instid0(VALU_DEP_2) | instskip(NEXT) | instid1(VALU_DEP_1)
	v_fma_f64 v[0:1], 0x3fc00000, v[0:1], v[10:11]
	v_fma_f64 v[0:1], 0x3fc00000, v[2:3], v[0:1]
	v_add_co_u32 v2, vcc_lo, v6, v8
	v_add_co_ci_u32_e32 v3, vcc_lo, v7, v9, vcc_lo
	s_delay_alu instid0(VALU_DEP_1) | instskip(NEXT) | instid1(VALU_DEP_1)
	v_lshlrev_b64 v[2:3], 3, v[2:3]
	v_add_co_u32 v2, vcc_lo, s0, v2
	s_delay_alu instid0(VALU_DEP_2)
	v_add_co_ci_u32_e32 v3, vcc_lo, s1, v3, vcc_lo
	v_add_f64 v[0:1], v[4:5], v[0:1]
	global_store_b64 v[2:3], v[0:1], off offset:8
.LBB1_2:
	s_nop 0
	s_sendmsg sendmsg(MSG_DEALLOC_VGPRS)
	s_endpgm
	.section	.rodata,"a",@progbits
	.p2align	6, 0x0
	.amdhsa_kernel _ZN8rajaperf9polybench14poly_heat_3D_2ILm32ELm8ELm1EEEvPdS2_l
		.amdhsa_group_segment_fixed_size 0
		.amdhsa_private_segment_fixed_size 0
		.amdhsa_kernarg_size 24
		.amdhsa_user_sgpr_count 13
		.amdhsa_user_sgpr_dispatch_ptr 0
		.amdhsa_user_sgpr_queue_ptr 0
		.amdhsa_user_sgpr_kernarg_segment_ptr 1
		.amdhsa_user_sgpr_dispatch_id 0
		.amdhsa_user_sgpr_private_segment_size 0
		.amdhsa_wavefront_size32 1
		.amdhsa_uses_dynamic_stack 0
		.amdhsa_enable_private_segment 0
		.amdhsa_system_sgpr_workgroup_id_x 1
		.amdhsa_system_sgpr_workgroup_id_y 1
		.amdhsa_system_sgpr_workgroup_id_z 1
		.amdhsa_system_sgpr_workgroup_info 0
		.amdhsa_system_vgpr_workitem_id 1
		.amdhsa_next_free_vgpr 25
		.amdhsa_next_free_sgpr 16
		.amdhsa_reserve_vcc 1
		.amdhsa_float_round_mode_32 0
		.amdhsa_float_round_mode_16_64 0
		.amdhsa_float_denorm_mode_32 3
		.amdhsa_float_denorm_mode_16_64 3
		.amdhsa_dx10_clamp 1
		.amdhsa_ieee_mode 1
		.amdhsa_fp16_overflow 0
		.amdhsa_workgroup_processor_mode 1
		.amdhsa_memory_ordered 1
		.amdhsa_forward_progress 0
		.amdhsa_shared_vgpr_count 0
		.amdhsa_exception_fp_ieee_invalid_op 0
		.amdhsa_exception_fp_denorm_src 0
		.amdhsa_exception_fp_ieee_div_zero 0
		.amdhsa_exception_fp_ieee_overflow 0
		.amdhsa_exception_fp_ieee_underflow 0
		.amdhsa_exception_fp_ieee_inexact 0
		.amdhsa_exception_int_div_zero 0
	.end_amdhsa_kernel
	.section	.text._ZN8rajaperf9polybench14poly_heat_3D_2ILm32ELm8ELm1EEEvPdS2_l,"axG",@progbits,_ZN8rajaperf9polybench14poly_heat_3D_2ILm32ELm8ELm1EEEvPdS2_l,comdat
.Lfunc_end1:
	.size	_ZN8rajaperf9polybench14poly_heat_3D_2ILm32ELm8ELm1EEEvPdS2_l, .Lfunc_end1-_ZN8rajaperf9polybench14poly_heat_3D_2ILm32ELm8ELm1EEEvPdS2_l
                                        ; -- End function
	.section	.AMDGPU.csdata,"",@progbits
; Kernel info:
; codeLenInByte = 832
; NumSgprs: 18
; NumVgprs: 25
; ScratchSize: 0
; MemoryBound: 0
; FloatMode: 240
; IeeeMode: 1
; LDSByteSize: 0 bytes/workgroup (compile time only)
; SGPRBlocks: 2
; VGPRBlocks: 3
; NumSGPRsForWavesPerEU: 18
; NumVGPRsForWavesPerEU: 25
; Occupancy: 16
; WaveLimiterHint : 0
; COMPUTE_PGM_RSRC2:SCRATCH_EN: 0
; COMPUTE_PGM_RSRC2:USER_SGPR: 13
; COMPUTE_PGM_RSRC2:TRAP_HANDLER: 0
; COMPUTE_PGM_RSRC2:TGID_X_EN: 1
; COMPUTE_PGM_RSRC2:TGID_Y_EN: 1
; COMPUTE_PGM_RSRC2:TGID_Z_EN: 1
; COMPUTE_PGM_RSRC2:TIDIG_COMP_CNT: 1
	.section	.text._ZN8rajaperf9polybench16poly_heat_3D_lamILm32ELm8ELm1EZNS0_17POLYBENCH_HEAT_3D17runHipVariantImplILm256EEEvNS_9VariantIDEEUllllE_EEvlT2_,"axG",@progbits,_ZN8rajaperf9polybench16poly_heat_3D_lamILm32ELm8ELm1EZNS0_17POLYBENCH_HEAT_3D17runHipVariantImplILm256EEEvNS_9VariantIDEEUllllE_EEvlT2_,comdat
	.protected	_ZN8rajaperf9polybench16poly_heat_3D_lamILm32ELm8ELm1EZNS0_17POLYBENCH_HEAT_3D17runHipVariantImplILm256EEEvNS_9VariantIDEEUllllE_EEvlT2_ ; -- Begin function _ZN8rajaperf9polybench16poly_heat_3D_lamILm32ELm8ELm1EZNS0_17POLYBENCH_HEAT_3D17runHipVariantImplILm256EEEvNS_9VariantIDEEUllllE_EEvlT2_
	.globl	_ZN8rajaperf9polybench16poly_heat_3D_lamILm32ELm8ELm1EZNS0_17POLYBENCH_HEAT_3D17runHipVariantImplILm256EEEvNS_9VariantIDEEUllllE_EEvlT2_
	.p2align	8
	.type	_ZN8rajaperf9polybench16poly_heat_3D_lamILm32ELm8ELm1EZNS0_17POLYBENCH_HEAT_3D17runHipVariantImplILm256EEEvNS_9VariantIDEEUllllE_EEvlT2_,@function
_ZN8rajaperf9polybench16poly_heat_3D_lamILm32ELm8ELm1EZNS0_17POLYBENCH_HEAT_3D17runHipVariantImplILm256EEEvNS_9VariantIDEEUllllE_EEvlT2_: ; @_ZN8rajaperf9polybench16poly_heat_3D_lamILm32ELm8ELm1EZNS0_17POLYBENCH_HEAT_3D17runHipVariantImplILm256EEEvNS_9VariantIDEEUllllE_EEvlT2_
; %bb.0:
	s_load_b64 s[4:5], s[0:1], 0x0
	v_bfe_u32 v1, v0, 10, 10
	v_and_b32_e32 v2, 0x3ff, v0
	s_mov_b32 s9, 0
	s_mov_b32 s2, s13
	s_add_i32 s8, s15, 1
	v_add_nc_u32_e32 v0, 1, v1
	v_add_nc_u32_e32 v3, 1, v2
	s_mov_b32 s15, s9
	s_mov_b32 s3, s9
	s_lshl_b64 s[6:7], s[14:15], 3
	s_lshl_b64 s[10:11], s[2:3], 5
	v_add_co_u32 v0, s6, s6, v0
	v_add_co_u32 v3, s2, s10, v3
	v_add_co_ci_u32_e64 v1, null, s7, 0, s6
	v_add_co_ci_u32_e64 v4, null, s11, 0, s2
	s_waitcnt lgkmcnt(0)
	s_add_u32 s4, s4, -1
	s_addc_u32 s5, s5, -1
	s_delay_alu instid0(SALU_CYCLE_1) | instskip(SKIP_2) | instid1(VALU_DEP_2)
	v_cmp_gt_i64_e32 vcc_lo, s[4:5], v[0:1]
	v_cmp_gt_i64_e64 s2, s[4:5], v[3:4]
	v_cmp_gt_i64_e64 s3, s[4:5], s[8:9]
	s_and_b32 s2, vcc_lo, s2
	s_delay_alu instid0(VALU_DEP_1) | instid1(SALU_CYCLE_1)
	s_and_b32 s2, s2, s3
	s_delay_alu instid0(SALU_CYCLE_1)
	s_and_saveexec_b32 s3, s2
	s_cbranch_execz .LBB2_2
; %bb.1:
	s_clause 0x1
	s_load_b128 s[4:7], s[0:1], 0x8
	s_load_b64 s[0:1], s[0:1], 0x18
	s_add_u32 s2, s8, 1
	s_addc_u32 s3, 0, 0
	s_waitcnt lgkmcnt(0)
	s_mul_i32 s9, s7, s8
	s_mul_hi_u32 s12, s6, s8
	s_mul_i32 s8, s6, s8
	s_add_i32 s12, s12, s9
	v_add_co_u32 v3, vcc_lo, s8, v0
	v_add_co_ci_u32_e32 v4, vcc_lo, s12, v1, vcc_lo
	v_add_co_u32 v8, s9, s10, v2
	s_delay_alu instid0(VALU_DEP_3) | instskip(SKIP_1) | instid1(VALU_DEP_4)
	v_mul_lo_u32 v5, v3, s7
	v_mad_u64_u32 v[6:7], null, v3, s6, 0
	v_mul_lo_u32 v3, v4, s6
	v_add_co_ci_u32_e64 v9, null, s11, 0, s9
	v_mad_u64_u32 v[10:11], null, s6, s2, v[0:1]
	s_delay_alu instid0(VALU_DEP_4) | instskip(NEXT) | instid1(VALU_DEP_4)
	v_add_co_u32 v12, vcc_lo, v6, s6
	v_add3_u32 v7, v7, v5, v3
	s_delay_alu instid0(VALU_DEP_4) | instskip(NEXT) | instid1(VALU_DEP_4)
	v_lshlrev_b64 v[2:3], 3, v[8:9]
	v_mul_lo_u32 v22, v10, s7
	v_mad_u64_u32 v[18:19], null, v10, s6, 0
	s_delay_alu instid0(VALU_DEP_4) | instskip(SKIP_3) | instid1(VALU_DEP_4)
	v_add_co_ci_u32_e32 v13, vcc_lo, s7, v7, vcc_lo
	v_lshlrev_b64 v[4:5], 3, v[6:7]
	v_add_co_u32 v20, vcc_lo, s0, v2
	v_add_co_ci_u32_e32 v21, vcc_lo, s1, v3, vcc_lo
	v_lshlrev_b64 v[2:3], 3, v[12:13]
	s_delay_alu instid0(VALU_DEP_3) | instskip(NEXT) | instid1(VALU_DEP_3)
	v_add_co_u32 v14, vcc_lo, v20, v4
	v_add_co_ci_u32_e32 v15, vcc_lo, v21, v5, vcc_lo
	s_mul_i32 s0, s7, s2
	s_delay_alu instid0(VALU_DEP_3) | instskip(NEXT) | instid1(VALU_DEP_4)
	v_add_co_u32 v16, vcc_lo, v20, v2
	v_add_co_ci_u32_e32 v17, vcc_lo, v21, v3, vcc_lo
	s_clause 0x1
	global_load_b128 v[2:5], v[14:15], off
	global_load_b64 v[16:17], v[16:17], off offset:8
	s_mul_i32 s1, s6, s3
	s_sub_u32 s2, s8, s6
	v_add3_u32 v11, s1, s0, v11
	s_subb_u32 s3, s12, s7
	s_lshl_b64 s[0:1], s[6:7], 1
	s_delay_alu instid0(VALU_DEP_1) | instskip(NEXT) | instid1(VALU_DEP_1)
	v_mul_lo_u32 v10, v11, s6
	v_add3_u32 v19, v19, v22, v10
	v_sub_co_u32 v10, vcc_lo, v12, s0
	v_subrev_co_ci_u32_e32 v11, vcc_lo, s1, v13, vcc_lo
	s_delay_alu instid0(VALU_DEP_3) | instskip(NEXT) | instid1(VALU_DEP_2)
	v_lshlrev_b64 v[12:13], 3, v[18:19]
	v_lshlrev_b64 v[10:11], 3, v[10:11]
	s_delay_alu instid0(VALU_DEP_2) | instskip(NEXT) | instid1(VALU_DEP_3)
	v_add_co_u32 v12, vcc_lo, v20, v12
	v_add_co_ci_u32_e32 v13, vcc_lo, v21, v13, vcc_lo
	s_delay_alu instid0(VALU_DEP_3) | instskip(NEXT) | instid1(VALU_DEP_4)
	v_add_co_u32 v10, vcc_lo, v20, v10
	v_add_co_ci_u32_e32 v11, vcc_lo, v21, v11, vcc_lo
	s_clause 0x1
	global_load_b64 v[12:13], v[12:13], off offset:8
	global_load_b64 v[10:11], v[10:11], off offset:8
	v_add_co_u32 v18, vcc_lo, s2, v0
	v_add_co_ci_u32_e32 v19, vcc_lo, s3, v1, vcc_lo
	s_delay_alu instid0(VALU_DEP_2) | instskip(SKIP_1) | instid1(VALU_DEP_3)
	v_mul_lo_u32 v22, v18, s7
	v_mad_u64_u32 v[0:1], null, v18, s6, 0
	v_mul_lo_u32 v18, v19, s6
	s_delay_alu instid0(VALU_DEP_1) | instskip(NEXT) | instid1(VALU_DEP_1)
	v_add3_u32 v1, v1, v22, v18
	v_lshlrev_b64 v[0:1], 3, v[0:1]
	s_delay_alu instid0(VALU_DEP_1) | instskip(NEXT) | instid1(VALU_DEP_2)
	v_add_co_u32 v0, vcc_lo, v20, v0
	v_add_co_ci_u32_e32 v1, vcc_lo, v21, v1, vcc_lo
	s_clause 0x1
	global_load_b64 v[0:1], v[0:1], off offset:8
	global_load_b64 v[14:15], v[14:15], off offset:16
	s_waitcnt vmcnt(4)
	v_fma_f64 v[16:17], v[4:5], -2.0, v[16:17]
	s_waitcnt vmcnt(3)
	v_fma_f64 v[12:13], v[4:5], -2.0, v[12:13]
	s_waitcnt vmcnt(2)
	s_delay_alu instid0(VALU_DEP_2) | instskip(SKIP_1) | instid1(VALU_DEP_2)
	v_add_f64 v[10:11], v[16:17], v[10:11]
	s_waitcnt vmcnt(1)
	v_add_f64 v[0:1], v[0:1], v[12:13]
	s_waitcnt vmcnt(0)
	v_fma_f64 v[12:13], v[4:5], -2.0, v[14:15]
	s_delay_alu instid0(VALU_DEP_3) | instskip(NEXT) | instid1(VALU_DEP_2)
	v_ldexp_f64 v[10:11], v[10:11], -3
	v_add_f64 v[2:3], v[12:13], v[2:3]
	s_delay_alu instid0(VALU_DEP_2) | instskip(NEXT) | instid1(VALU_DEP_1)
	v_fma_f64 v[0:1], 0x3fc00000, v[0:1], v[10:11]
	v_fma_f64 v[0:1], 0x3fc00000, v[2:3], v[0:1]
	v_add_co_u32 v2, vcc_lo, v6, v8
	v_add_co_ci_u32_e32 v3, vcc_lo, v7, v9, vcc_lo
	s_delay_alu instid0(VALU_DEP_1) | instskip(NEXT) | instid1(VALU_DEP_1)
	v_lshlrev_b64 v[2:3], 3, v[2:3]
	v_add_co_u32 v2, vcc_lo, s4, v2
	s_delay_alu instid0(VALU_DEP_2)
	v_add_co_ci_u32_e32 v3, vcc_lo, s5, v3, vcc_lo
	v_add_f64 v[0:1], v[4:5], v[0:1]
	global_store_b64 v[2:3], v[0:1], off offset:8
.LBB2_2:
	s_nop 0
	s_sendmsg sendmsg(MSG_DEALLOC_VGPRS)
	s_endpgm
	.section	.rodata,"a",@progbits
	.p2align	6, 0x0
	.amdhsa_kernel _ZN8rajaperf9polybench16poly_heat_3D_lamILm32ELm8ELm1EZNS0_17POLYBENCH_HEAT_3D17runHipVariantImplILm256EEEvNS_9VariantIDEEUllllE_EEvlT2_
		.amdhsa_group_segment_fixed_size 0
		.amdhsa_private_segment_fixed_size 0
		.amdhsa_kernarg_size 32
		.amdhsa_user_sgpr_count 13
		.amdhsa_user_sgpr_dispatch_ptr 0
		.amdhsa_user_sgpr_queue_ptr 0
		.amdhsa_user_sgpr_kernarg_segment_ptr 1
		.amdhsa_user_sgpr_dispatch_id 0
		.amdhsa_user_sgpr_private_segment_size 0
		.amdhsa_wavefront_size32 1
		.amdhsa_uses_dynamic_stack 0
		.amdhsa_enable_private_segment 0
		.amdhsa_system_sgpr_workgroup_id_x 1
		.amdhsa_system_sgpr_workgroup_id_y 1
		.amdhsa_system_sgpr_workgroup_id_z 1
		.amdhsa_system_sgpr_workgroup_info 0
		.amdhsa_system_vgpr_workitem_id 1
		.amdhsa_next_free_vgpr 23
		.amdhsa_next_free_sgpr 16
		.amdhsa_reserve_vcc 1
		.amdhsa_float_round_mode_32 0
		.amdhsa_float_round_mode_16_64 0
		.amdhsa_float_denorm_mode_32 3
		.amdhsa_float_denorm_mode_16_64 3
		.amdhsa_dx10_clamp 1
		.amdhsa_ieee_mode 1
		.amdhsa_fp16_overflow 0
		.amdhsa_workgroup_processor_mode 1
		.amdhsa_memory_ordered 1
		.amdhsa_forward_progress 0
		.amdhsa_shared_vgpr_count 0
		.amdhsa_exception_fp_ieee_invalid_op 0
		.amdhsa_exception_fp_denorm_src 0
		.amdhsa_exception_fp_ieee_div_zero 0
		.amdhsa_exception_fp_ieee_overflow 0
		.amdhsa_exception_fp_ieee_underflow 0
		.amdhsa_exception_fp_ieee_inexact 0
		.amdhsa_exception_int_div_zero 0
	.end_amdhsa_kernel
	.section	.text._ZN8rajaperf9polybench16poly_heat_3D_lamILm32ELm8ELm1EZNS0_17POLYBENCH_HEAT_3D17runHipVariantImplILm256EEEvNS_9VariantIDEEUllllE_EEvlT2_,"axG",@progbits,_ZN8rajaperf9polybench16poly_heat_3D_lamILm32ELm8ELm1EZNS0_17POLYBENCH_HEAT_3D17runHipVariantImplILm256EEEvNS_9VariantIDEEUllllE_EEvlT2_,comdat
.Lfunc_end2:
	.size	_ZN8rajaperf9polybench16poly_heat_3D_lamILm32ELm8ELm1EZNS0_17POLYBENCH_HEAT_3D17runHipVariantImplILm256EEEvNS_9VariantIDEEUllllE_EEvlT2_, .Lfunc_end2-_ZN8rajaperf9polybench16poly_heat_3D_lamILm32ELm8ELm1EZNS0_17POLYBENCH_HEAT_3D17runHipVariantImplILm256EEEvNS_9VariantIDEEUllllE_EEvlT2_
                                        ; -- End function
	.section	.AMDGPU.csdata,"",@progbits
; Kernel info:
; codeLenInByte = 808
; NumSgprs: 18
; NumVgprs: 23
; ScratchSize: 0
; MemoryBound: 0
; FloatMode: 240
; IeeeMode: 1
; LDSByteSize: 0 bytes/workgroup (compile time only)
; SGPRBlocks: 2
; VGPRBlocks: 2
; NumSGPRsForWavesPerEU: 18
; NumVGPRsForWavesPerEU: 23
; Occupancy: 16
; WaveLimiterHint : 0
; COMPUTE_PGM_RSRC2:SCRATCH_EN: 0
; COMPUTE_PGM_RSRC2:USER_SGPR: 13
; COMPUTE_PGM_RSRC2:TRAP_HANDLER: 0
; COMPUTE_PGM_RSRC2:TGID_X_EN: 1
; COMPUTE_PGM_RSRC2:TGID_Y_EN: 1
; COMPUTE_PGM_RSRC2:TGID_Z_EN: 1
; COMPUTE_PGM_RSRC2:TIDIG_COMP_CNT: 1
	.section	.text._ZN8rajaperf9polybench16poly_heat_3D_lamILm32ELm8ELm1EZNS0_17POLYBENCH_HEAT_3D17runHipVariantImplILm256EEEvNS_9VariantIDEEUllllE0_EEvlT2_,"axG",@progbits,_ZN8rajaperf9polybench16poly_heat_3D_lamILm32ELm8ELm1EZNS0_17POLYBENCH_HEAT_3D17runHipVariantImplILm256EEEvNS_9VariantIDEEUllllE0_EEvlT2_,comdat
	.protected	_ZN8rajaperf9polybench16poly_heat_3D_lamILm32ELm8ELm1EZNS0_17POLYBENCH_HEAT_3D17runHipVariantImplILm256EEEvNS_9VariantIDEEUllllE0_EEvlT2_ ; -- Begin function _ZN8rajaperf9polybench16poly_heat_3D_lamILm32ELm8ELm1EZNS0_17POLYBENCH_HEAT_3D17runHipVariantImplILm256EEEvNS_9VariantIDEEUllllE0_EEvlT2_
	.globl	_ZN8rajaperf9polybench16poly_heat_3D_lamILm32ELm8ELm1EZNS0_17POLYBENCH_HEAT_3D17runHipVariantImplILm256EEEvNS_9VariantIDEEUllllE0_EEvlT2_
	.p2align	8
	.type	_ZN8rajaperf9polybench16poly_heat_3D_lamILm32ELm8ELm1EZNS0_17POLYBENCH_HEAT_3D17runHipVariantImplILm256EEEvNS_9VariantIDEEUllllE0_EEvlT2_,@function
_ZN8rajaperf9polybench16poly_heat_3D_lamILm32ELm8ELm1EZNS0_17POLYBENCH_HEAT_3D17runHipVariantImplILm256EEEvNS_9VariantIDEEUllllE0_EEvlT2_: ; @_ZN8rajaperf9polybench16poly_heat_3D_lamILm32ELm8ELm1EZNS0_17POLYBENCH_HEAT_3D17runHipVariantImplILm256EEEvNS_9VariantIDEEUllllE0_EEvlT2_
; %bb.0:
	s_load_b64 s[4:5], s[0:1], 0x0
	v_bfe_u32 v1, v0, 10, 10
	v_and_b32_e32 v2, 0x3ff, v0
	s_mov_b32 s9, 0
	s_mov_b32 s2, s13
	s_add_i32 s8, s15, 1
	v_add_nc_u32_e32 v0, 1, v1
	v_add_nc_u32_e32 v3, 1, v2
	s_mov_b32 s15, s9
	s_mov_b32 s3, s9
	s_lshl_b64 s[6:7], s[14:15], 3
	s_lshl_b64 s[10:11], s[2:3], 5
	v_add_co_u32 v0, s6, s6, v0
	v_add_co_u32 v3, s2, s10, v3
	v_add_co_ci_u32_e64 v1, null, s7, 0, s6
	v_add_co_ci_u32_e64 v4, null, s11, 0, s2
	s_waitcnt lgkmcnt(0)
	s_add_u32 s4, s4, -1
	s_addc_u32 s5, s5, -1
	s_delay_alu instid0(SALU_CYCLE_1) | instskip(SKIP_2) | instid1(VALU_DEP_2)
	v_cmp_gt_i64_e32 vcc_lo, s[4:5], v[0:1]
	v_cmp_gt_i64_e64 s2, s[4:5], v[3:4]
	v_cmp_gt_i64_e64 s3, s[4:5], s[8:9]
	s_and_b32 s2, vcc_lo, s2
	s_delay_alu instid0(VALU_DEP_1) | instid1(SALU_CYCLE_1)
	s_and_b32 s2, s2, s3
	s_delay_alu instid0(SALU_CYCLE_1)
	s_and_saveexec_b32 s3, s2
	s_cbranch_execz .LBB3_2
; %bb.1:
	s_clause 0x1
	s_load_b128 s[4:7], s[0:1], 0x8
	s_load_b64 s[0:1], s[0:1], 0x18
	s_add_u32 s2, s8, 1
	s_addc_u32 s3, 0, 0
	s_waitcnt lgkmcnt(0)
	s_mul_i32 s9, s7, s8
	s_mul_hi_u32 s12, s6, s8
	s_mul_i32 s8, s6, s8
	s_add_i32 s12, s12, s9
	v_add_co_u32 v3, vcc_lo, s8, v0
	v_add_co_ci_u32_e32 v4, vcc_lo, s12, v1, vcc_lo
	v_add_co_u32 v8, s9, s10, v2
	s_delay_alu instid0(VALU_DEP_3) | instskip(SKIP_1) | instid1(VALU_DEP_4)
	v_mul_lo_u32 v5, v3, s7
	v_mad_u64_u32 v[6:7], null, v3, s6, 0
	v_mul_lo_u32 v3, v4, s6
	v_add_co_ci_u32_e64 v9, null, s11, 0, s9
	v_mad_u64_u32 v[10:11], null, s6, s2, v[0:1]
	s_delay_alu instid0(VALU_DEP_4) | instskip(NEXT) | instid1(VALU_DEP_4)
	v_add_co_u32 v12, vcc_lo, v6, s6
	v_add3_u32 v7, v7, v5, v3
	s_delay_alu instid0(VALU_DEP_4) | instskip(NEXT) | instid1(VALU_DEP_4)
	v_lshlrev_b64 v[2:3], 3, v[8:9]
	v_mul_lo_u32 v22, v10, s7
	v_mad_u64_u32 v[18:19], null, v10, s6, 0
	s_delay_alu instid0(VALU_DEP_4) | instskip(SKIP_3) | instid1(VALU_DEP_4)
	v_add_co_ci_u32_e32 v13, vcc_lo, s7, v7, vcc_lo
	v_lshlrev_b64 v[4:5], 3, v[6:7]
	v_add_co_u32 v20, vcc_lo, s0, v2
	v_add_co_ci_u32_e32 v21, vcc_lo, s1, v3, vcc_lo
	v_lshlrev_b64 v[2:3], 3, v[12:13]
	s_delay_alu instid0(VALU_DEP_3) | instskip(NEXT) | instid1(VALU_DEP_3)
	v_add_co_u32 v14, vcc_lo, v20, v4
	v_add_co_ci_u32_e32 v15, vcc_lo, v21, v5, vcc_lo
	s_mul_i32 s0, s7, s2
	s_delay_alu instid0(VALU_DEP_3) | instskip(NEXT) | instid1(VALU_DEP_4)
	v_add_co_u32 v16, vcc_lo, v20, v2
	v_add_co_ci_u32_e32 v17, vcc_lo, v21, v3, vcc_lo
	s_clause 0x1
	global_load_b128 v[2:5], v[14:15], off
	global_load_b64 v[16:17], v[16:17], off offset:8
	s_mul_i32 s1, s6, s3
	s_sub_u32 s2, s8, s6
	v_add3_u32 v11, s1, s0, v11
	s_subb_u32 s3, s12, s7
	s_lshl_b64 s[0:1], s[6:7], 1
	s_delay_alu instid0(VALU_DEP_1) | instskip(NEXT) | instid1(VALU_DEP_1)
	v_mul_lo_u32 v10, v11, s6
	v_add3_u32 v19, v19, v22, v10
	v_sub_co_u32 v10, vcc_lo, v12, s0
	v_subrev_co_ci_u32_e32 v11, vcc_lo, s1, v13, vcc_lo
	s_delay_alu instid0(VALU_DEP_3) | instskip(NEXT) | instid1(VALU_DEP_2)
	v_lshlrev_b64 v[12:13], 3, v[18:19]
	v_lshlrev_b64 v[10:11], 3, v[10:11]
	s_delay_alu instid0(VALU_DEP_2) | instskip(NEXT) | instid1(VALU_DEP_3)
	v_add_co_u32 v12, vcc_lo, v20, v12
	v_add_co_ci_u32_e32 v13, vcc_lo, v21, v13, vcc_lo
	s_delay_alu instid0(VALU_DEP_3) | instskip(NEXT) | instid1(VALU_DEP_4)
	v_add_co_u32 v10, vcc_lo, v20, v10
	v_add_co_ci_u32_e32 v11, vcc_lo, v21, v11, vcc_lo
	s_clause 0x1
	global_load_b64 v[12:13], v[12:13], off offset:8
	global_load_b64 v[10:11], v[10:11], off offset:8
	v_add_co_u32 v18, vcc_lo, s2, v0
	v_add_co_ci_u32_e32 v19, vcc_lo, s3, v1, vcc_lo
	s_delay_alu instid0(VALU_DEP_2) | instskip(SKIP_1) | instid1(VALU_DEP_3)
	v_mul_lo_u32 v22, v18, s7
	v_mad_u64_u32 v[0:1], null, v18, s6, 0
	v_mul_lo_u32 v18, v19, s6
	s_delay_alu instid0(VALU_DEP_1) | instskip(NEXT) | instid1(VALU_DEP_1)
	v_add3_u32 v1, v1, v22, v18
	v_lshlrev_b64 v[0:1], 3, v[0:1]
	s_delay_alu instid0(VALU_DEP_1) | instskip(NEXT) | instid1(VALU_DEP_2)
	v_add_co_u32 v0, vcc_lo, v20, v0
	v_add_co_ci_u32_e32 v1, vcc_lo, v21, v1, vcc_lo
	s_clause 0x1
	global_load_b64 v[0:1], v[0:1], off offset:8
	global_load_b64 v[14:15], v[14:15], off offset:16
	s_waitcnt vmcnt(4)
	v_fma_f64 v[16:17], v[4:5], -2.0, v[16:17]
	s_waitcnt vmcnt(3)
	v_fma_f64 v[12:13], v[4:5], -2.0, v[12:13]
	s_waitcnt vmcnt(2)
	s_delay_alu instid0(VALU_DEP_2) | instskip(SKIP_1) | instid1(VALU_DEP_2)
	v_add_f64 v[10:11], v[16:17], v[10:11]
	s_waitcnt vmcnt(1)
	v_add_f64 v[0:1], v[0:1], v[12:13]
	s_waitcnt vmcnt(0)
	v_fma_f64 v[12:13], v[4:5], -2.0, v[14:15]
	s_delay_alu instid0(VALU_DEP_3) | instskip(NEXT) | instid1(VALU_DEP_2)
	v_ldexp_f64 v[10:11], v[10:11], -3
	v_add_f64 v[2:3], v[12:13], v[2:3]
	s_delay_alu instid0(VALU_DEP_2) | instskip(NEXT) | instid1(VALU_DEP_1)
	v_fma_f64 v[0:1], 0x3fc00000, v[0:1], v[10:11]
	v_fma_f64 v[0:1], 0x3fc00000, v[2:3], v[0:1]
	v_add_co_u32 v2, vcc_lo, v6, v8
	v_add_co_ci_u32_e32 v3, vcc_lo, v7, v9, vcc_lo
	s_delay_alu instid0(VALU_DEP_1) | instskip(NEXT) | instid1(VALU_DEP_1)
	v_lshlrev_b64 v[2:3], 3, v[2:3]
	v_add_co_u32 v2, vcc_lo, s4, v2
	s_delay_alu instid0(VALU_DEP_2)
	v_add_co_ci_u32_e32 v3, vcc_lo, s5, v3, vcc_lo
	v_add_f64 v[0:1], v[4:5], v[0:1]
	global_store_b64 v[2:3], v[0:1], off offset:8
.LBB3_2:
	s_nop 0
	s_sendmsg sendmsg(MSG_DEALLOC_VGPRS)
	s_endpgm
	.section	.rodata,"a",@progbits
	.p2align	6, 0x0
	.amdhsa_kernel _ZN8rajaperf9polybench16poly_heat_3D_lamILm32ELm8ELm1EZNS0_17POLYBENCH_HEAT_3D17runHipVariantImplILm256EEEvNS_9VariantIDEEUllllE0_EEvlT2_
		.amdhsa_group_segment_fixed_size 0
		.amdhsa_private_segment_fixed_size 0
		.amdhsa_kernarg_size 32
		.amdhsa_user_sgpr_count 13
		.amdhsa_user_sgpr_dispatch_ptr 0
		.amdhsa_user_sgpr_queue_ptr 0
		.amdhsa_user_sgpr_kernarg_segment_ptr 1
		.amdhsa_user_sgpr_dispatch_id 0
		.amdhsa_user_sgpr_private_segment_size 0
		.amdhsa_wavefront_size32 1
		.amdhsa_uses_dynamic_stack 0
		.amdhsa_enable_private_segment 0
		.amdhsa_system_sgpr_workgroup_id_x 1
		.amdhsa_system_sgpr_workgroup_id_y 1
		.amdhsa_system_sgpr_workgroup_id_z 1
		.amdhsa_system_sgpr_workgroup_info 0
		.amdhsa_system_vgpr_workitem_id 1
		.amdhsa_next_free_vgpr 23
		.amdhsa_next_free_sgpr 16
		.amdhsa_reserve_vcc 1
		.amdhsa_float_round_mode_32 0
		.amdhsa_float_round_mode_16_64 0
		.amdhsa_float_denorm_mode_32 3
		.amdhsa_float_denorm_mode_16_64 3
		.amdhsa_dx10_clamp 1
		.amdhsa_ieee_mode 1
		.amdhsa_fp16_overflow 0
		.amdhsa_workgroup_processor_mode 1
		.amdhsa_memory_ordered 1
		.amdhsa_forward_progress 0
		.amdhsa_shared_vgpr_count 0
		.amdhsa_exception_fp_ieee_invalid_op 0
		.amdhsa_exception_fp_denorm_src 0
		.amdhsa_exception_fp_ieee_div_zero 0
		.amdhsa_exception_fp_ieee_overflow 0
		.amdhsa_exception_fp_ieee_underflow 0
		.amdhsa_exception_fp_ieee_inexact 0
		.amdhsa_exception_int_div_zero 0
	.end_amdhsa_kernel
	.section	.text._ZN8rajaperf9polybench16poly_heat_3D_lamILm32ELm8ELm1EZNS0_17POLYBENCH_HEAT_3D17runHipVariantImplILm256EEEvNS_9VariantIDEEUllllE0_EEvlT2_,"axG",@progbits,_ZN8rajaperf9polybench16poly_heat_3D_lamILm32ELm8ELm1EZNS0_17POLYBENCH_HEAT_3D17runHipVariantImplILm256EEEvNS_9VariantIDEEUllllE0_EEvlT2_,comdat
.Lfunc_end3:
	.size	_ZN8rajaperf9polybench16poly_heat_3D_lamILm32ELm8ELm1EZNS0_17POLYBENCH_HEAT_3D17runHipVariantImplILm256EEEvNS_9VariantIDEEUllllE0_EEvlT2_, .Lfunc_end3-_ZN8rajaperf9polybench16poly_heat_3D_lamILm32ELm8ELm1EZNS0_17POLYBENCH_HEAT_3D17runHipVariantImplILm256EEEvNS_9VariantIDEEUllllE0_EEvlT2_
                                        ; -- End function
	.section	.AMDGPU.csdata,"",@progbits
; Kernel info:
; codeLenInByte = 808
; NumSgprs: 18
; NumVgprs: 23
; ScratchSize: 0
; MemoryBound: 0
; FloatMode: 240
; IeeeMode: 1
; LDSByteSize: 0 bytes/workgroup (compile time only)
; SGPRBlocks: 2
; VGPRBlocks: 2
; NumSGPRsForWavesPerEU: 18
; NumVGPRsForWavesPerEU: 23
; Occupancy: 16
; WaveLimiterHint : 0
; COMPUTE_PGM_RSRC2:SCRATCH_EN: 0
; COMPUTE_PGM_RSRC2:USER_SGPR: 13
; COMPUTE_PGM_RSRC2:TRAP_HANDLER: 0
; COMPUTE_PGM_RSRC2:TGID_X_EN: 1
; COMPUTE_PGM_RSRC2:TGID_Y_EN: 1
; COMPUTE_PGM_RSRC2:TGID_Z_EN: 1
; COMPUTE_PGM_RSRC2:TIDIG_COMP_CNT: 1
	.section	.text._ZN4RAJA8internal22HipKernelLauncherFixedILi256ENS0_8LoopDataIN4camp5tupleIJNS_4SpanINS_9Iterators16numeric_iteratorIllPlEElEESA_SA_EEENS4_IJEEENS3_9resources2v13HipEJZN8rajaperf9polybench17POLYBENCH_HEAT_3D17runHipVariantImplILm256EEEvNSG_9VariantIDEEUllllE1_EEENS0_24HipStatementListExecutorISM_NS3_4listIJNS_9statement3ForILl0ENS_6policy3hip11hip_indexerINS_17iteration_mapping6DirectELNS_23kernel_sync_requirementE0EJNS_3hip11IndexGlobalILNS_9named_dimE2ELin1ELi0EEEEEEJNSQ_ILl1ENST_ISV_LSW_0EJNSY_ILSZ_1ELi8ELi0EEEEEEJNSQ_ILl2ENST_ISV_LSW_0EJNSY_ILSZ_0ELi32ELi0EEEEEEJNSP_6LambdaILl0EJEEEEEEEEEEEEEEENS0_9LoopTypesINSO_IJvvvEEES1D_EEEEEEvT0_,"axG",@progbits,_ZN4RAJA8internal22HipKernelLauncherFixedILi256ENS0_8LoopDataIN4camp5tupleIJNS_4SpanINS_9Iterators16numeric_iteratorIllPlEElEESA_SA_EEENS4_IJEEENS3_9resources2v13HipEJZN8rajaperf9polybench17POLYBENCH_HEAT_3D17runHipVariantImplILm256EEEvNSG_9VariantIDEEUllllE1_EEENS0_24HipStatementListExecutorISM_NS3_4listIJNS_9statement3ForILl0ENS_6policy3hip11hip_indexerINS_17iteration_mapping6DirectELNS_23kernel_sync_requirementE0EJNS_3hip11IndexGlobalILNS_9named_dimE2ELin1ELi0EEEEEEJNSQ_ILl1ENST_ISV_LSW_0EJNSY_ILSZ_1ELi8ELi0EEEEEEJNSQ_ILl2ENST_ISV_LSW_0EJNSY_ILSZ_0ELi32ELi0EEEEEEJNSP_6LambdaILl0EJEEEEEEEEEEEEEEENS0_9LoopTypesINSO_IJvvvEEES1D_EEEEEEvT0_,comdat
	.protected	_ZN4RAJA8internal22HipKernelLauncherFixedILi256ENS0_8LoopDataIN4camp5tupleIJNS_4SpanINS_9Iterators16numeric_iteratorIllPlEElEESA_SA_EEENS4_IJEEENS3_9resources2v13HipEJZN8rajaperf9polybench17POLYBENCH_HEAT_3D17runHipVariantImplILm256EEEvNSG_9VariantIDEEUllllE1_EEENS0_24HipStatementListExecutorISM_NS3_4listIJNS_9statement3ForILl0ENS_6policy3hip11hip_indexerINS_17iteration_mapping6DirectELNS_23kernel_sync_requirementE0EJNS_3hip11IndexGlobalILNS_9named_dimE2ELin1ELi0EEEEEEJNSQ_ILl1ENST_ISV_LSW_0EJNSY_ILSZ_1ELi8ELi0EEEEEEJNSQ_ILl2ENST_ISV_LSW_0EJNSY_ILSZ_0ELi32ELi0EEEEEEJNSP_6LambdaILl0EJEEEEEEEEEEEEEEENS0_9LoopTypesINSO_IJvvvEEES1D_EEEEEEvT0_ ; -- Begin function _ZN4RAJA8internal22HipKernelLauncherFixedILi256ENS0_8LoopDataIN4camp5tupleIJNS_4SpanINS_9Iterators16numeric_iteratorIllPlEElEESA_SA_EEENS4_IJEEENS3_9resources2v13HipEJZN8rajaperf9polybench17POLYBENCH_HEAT_3D17runHipVariantImplILm256EEEvNSG_9VariantIDEEUllllE1_EEENS0_24HipStatementListExecutorISM_NS3_4listIJNS_9statement3ForILl0ENS_6policy3hip11hip_indexerINS_17iteration_mapping6DirectELNS_23kernel_sync_requirementE0EJNS_3hip11IndexGlobalILNS_9named_dimE2ELin1ELi0EEEEEEJNSQ_ILl1ENST_ISV_LSW_0EJNSY_ILSZ_1ELi8ELi0EEEEEEJNSQ_ILl2ENST_ISV_LSW_0EJNSY_ILSZ_0ELi32ELi0EEEEEEJNSP_6LambdaILl0EJEEEEEEEEEEEEEEENS0_9LoopTypesINSO_IJvvvEEES1D_EEEEEEvT0_
	.globl	_ZN4RAJA8internal22HipKernelLauncherFixedILi256ENS0_8LoopDataIN4camp5tupleIJNS_4SpanINS_9Iterators16numeric_iteratorIllPlEElEESA_SA_EEENS4_IJEEENS3_9resources2v13HipEJZN8rajaperf9polybench17POLYBENCH_HEAT_3D17runHipVariantImplILm256EEEvNSG_9VariantIDEEUllllE1_EEENS0_24HipStatementListExecutorISM_NS3_4listIJNS_9statement3ForILl0ENS_6policy3hip11hip_indexerINS_17iteration_mapping6DirectELNS_23kernel_sync_requirementE0EJNS_3hip11IndexGlobalILNS_9named_dimE2ELin1ELi0EEEEEEJNSQ_ILl1ENST_ISV_LSW_0EJNSY_ILSZ_1ELi8ELi0EEEEEEJNSQ_ILl2ENST_ISV_LSW_0EJNSY_ILSZ_0ELi32ELi0EEEEEEJNSP_6LambdaILl0EJEEEEEEEEEEEEEEENS0_9LoopTypesINSO_IJvvvEEES1D_EEEEEEvT0_
	.p2align	8
	.type	_ZN4RAJA8internal22HipKernelLauncherFixedILi256ENS0_8LoopDataIN4camp5tupleIJNS_4SpanINS_9Iterators16numeric_iteratorIllPlEElEESA_SA_EEENS4_IJEEENS3_9resources2v13HipEJZN8rajaperf9polybench17POLYBENCH_HEAT_3D17runHipVariantImplILm256EEEvNSG_9VariantIDEEUllllE1_EEENS0_24HipStatementListExecutorISM_NS3_4listIJNS_9statement3ForILl0ENS_6policy3hip11hip_indexerINS_17iteration_mapping6DirectELNS_23kernel_sync_requirementE0EJNS_3hip11IndexGlobalILNS_9named_dimE2ELin1ELi0EEEEEEJNSQ_ILl1ENST_ISV_LSW_0EJNSY_ILSZ_1ELi8ELi0EEEEEEJNSQ_ILl2ENST_ISV_LSW_0EJNSY_ILSZ_0ELi32ELi0EEEEEEJNSP_6LambdaILl0EJEEEEEEEEEEEEEEENS0_9LoopTypesINSO_IJvvvEEES1D_EEEEEEvT0_,@function
_ZN4RAJA8internal22HipKernelLauncherFixedILi256ENS0_8LoopDataIN4camp5tupleIJNS_4SpanINS_9Iterators16numeric_iteratorIllPlEElEESA_SA_EEENS4_IJEEENS3_9resources2v13HipEJZN8rajaperf9polybench17POLYBENCH_HEAT_3D17runHipVariantImplILm256EEEvNSG_9VariantIDEEUllllE1_EEENS0_24HipStatementListExecutorISM_NS3_4listIJNS_9statement3ForILl0ENS_6policy3hip11hip_indexerINS_17iteration_mapping6DirectELNS_23kernel_sync_requirementE0EJNS_3hip11IndexGlobalILNS_9named_dimE2ELin1ELi0EEEEEEJNSQ_ILl1ENST_ISV_LSW_0EJNSY_ILSZ_1ELi8ELi0EEEEEEJNSQ_ILl2ENST_ISV_LSW_0EJNSY_ILSZ_0ELi32ELi0EEEEEEJNSP_6LambdaILl0EJEEEEEEEEEEEEEEENS0_9LoopTypesINSO_IJvvvEEES1D_EEEEEEvT0_: ; @_ZN4RAJA8internal22HipKernelLauncherFixedILi256ENS0_8LoopDataIN4camp5tupleIJNS_4SpanINS_9Iterators16numeric_iteratorIllPlEElEESA_SA_EEENS4_IJEEENS3_9resources2v13HipEJZN8rajaperf9polybench17POLYBENCH_HEAT_3D17runHipVariantImplILm256EEEvNSG_9VariantIDEEUllllE1_EEENS0_24HipStatementListExecutorISM_NS3_4listIJNS_9statement3ForILl0ENS_6policy3hip11hip_indexerINS_17iteration_mapping6DirectELNS_23kernel_sync_requirementE0EJNS_3hip11IndexGlobalILNS_9named_dimE2ELin1ELi0EEEEEEJNSQ_ILl1ENST_ISV_LSW_0EJNSY_ILSZ_1ELi8ELi0EEEEEEJNSQ_ILl2ENST_ISV_LSW_0EJNSY_ILSZ_0ELi32ELi0EEEEEEJNSP_6LambdaILl0EJEEEEEEEEEEEEEEENS0_9LoopTypesINSO_IJvvvEEES1D_EEEEEEvT0_
; %bb.0:
	s_clause 0x1
	s_load_b256 s[4:11], s[0:1], 0x0
	s_load_b128 s[16:19], s[0:1], 0x20
	s_mov_b32 s21, 0
	s_mov_b32 s20, s15
	;; [unrolled: 1-line block ×3, first 2 shown]
	v_bfe_u32 v1, v0, 10, 10
	v_and_b32_e32 v2, 0x3ff, v0
	s_mov_b32 s2, s13
	s_mov_b32 s3, s21
	s_waitcnt lgkmcnt(0)
	s_sub_u32 s6, s6, s4
	s_subb_u32 s7, s7, s5
	s_sub_u32 s10, s10, s8
	s_subb_u32 s11, s11, s9
	s_lshl_b64 s[12:13], s[14:15], 3
	s_sub_u32 s14, s18, s16
	s_subb_u32 s15, s19, s17
	s_lshl_b64 s[2:3], s[2:3], 5
	v_add_co_u32 v0, s12, s12, v1
	v_add_co_u32 v2, s2, s2, v2
	v_add_co_ci_u32_e64 v1, null, s13, 0, s12
	v_add_co_ci_u32_e64 v3, null, s3, 0, s2
	v_cmp_gt_i64_e64 s3, s[6:7], s[20:21]
	s_delay_alu instid0(VALU_DEP_3) | instskip(NEXT) | instid1(VALU_DEP_3)
	v_cmp_gt_i64_e32 vcc_lo, s[10:11], v[0:1]
	v_cmp_gt_i64_e64 s2, s[14:15], v[2:3]
	s_delay_alu instid0(VALU_DEP_1)
	s_and_b32 s2, vcc_lo, s2
	s_delay_alu instid0(VALU_DEP_3) | instid1(SALU_CYCLE_1)
	s_and_b32 s2, s2, s3
	s_delay_alu instid0(SALU_CYCLE_1)
	s_and_saveexec_b32 s3, s2
	s_cbranch_execz .LBB4_2
; %bb.1:
	s_clause 0x1
	s_load_b128 s[12:15], s[0:1], 0xd0
	s_load_b64 s[2:3], s[0:1], 0xb0
	v_add_co_u32 v16, vcc_lo, s8, v0
	v_add_co_ci_u32_e32 v17, vcc_lo, s9, v1, vcc_lo
	v_add_co_u32 v0, vcc_lo, s16, v2
	v_add_co_ci_u32_e32 v1, vcc_lo, s17, v3, vcc_lo
	s_add_u32 s18, s4, s20
	s_addc_u32 s16, s5, 0
	s_add_u32 s4, s18, 1
	s_delay_alu instid0(VALU_DEP_1)
	v_lshlrev_b64 v[6:7], 3, v[0:1]
	s_addc_u32 s5, s16, 0
	s_waitcnt lgkmcnt(0)
	v_mul_lo_u32 v2, s15, v16
	v_mul_lo_u32 v3, s14, v17
	v_mad_u64_u32 v[4:5], null, s14, v16, 0
	s_mul_i32 s5, s12, s5
	s_mul_hi_u32 s7, s12, s4
	s_mul_i32 s9, s12, s16
	s_mul_hi_u32 s10, s12, s18
	s_mul_i32 s11, s13, s18
	s_add_i32 s5, s7, s5
	s_delay_alu instid0(VALU_DEP_1)
	v_add3_u32 v5, v5, v3, v2
	s_add_i32 s7, s10, s9
	s_mul_i32 s8, s13, s4
	s_mul_i32 s6, s12, s18
	s_add_i32 s7, s7, s11
	v_lshlrev_b64 v[0:1], 3, v[4:5]
	s_add_i32 s5, s5, s8
	s_lshl_b64 s[8:9], s[6:7], 3
	s_mul_i32 s4, s12, s4
	s_delay_alu instid0(SALU_CYCLE_1) | instskip(NEXT) | instid1(VALU_DEP_1)
	s_lshl_b64 s[4:5], s[4:5], 3
	v_add_co_u32 v14, vcc_lo, s2, v0
	v_add_co_ci_u32_e32 v15, vcc_lo, s3, v1, vcc_lo
	s_sub_u32 s6, s6, s12
	s_delay_alu instid0(VALU_DEP_2) | instskip(NEXT) | instid1(VALU_DEP_2)
	v_add_co_u32 v0, vcc_lo, v14, s8
	v_add_co_ci_u32_e32 v1, vcc_lo, s9, v15, vcc_lo
	s_subb_u32 s7, s7, s13
	s_delay_alu instid0(VALU_DEP_2) | instskip(NEXT) | instid1(VALU_DEP_2)
	v_add_co_u32 v8, vcc_lo, v0, v6
	v_add_co_ci_u32_e32 v9, vcc_lo, v1, v7, vcc_lo
	s_lshl_b64 s[10:11], s[14:15], 3
	s_lshl_b64 s[6:7], s[6:7], 3
	s_delay_alu instid0(VALU_DEP_2) | instskip(NEXT) | instid1(VALU_DEP_2)
	v_add_co_u32 v10, vcc_lo, v8, s10
	v_add_co_ci_u32_e32 v11, vcc_lo, s11, v9, vcc_lo
	s_clause 0x1
	global_load_b128 v[0:3], v[8:9], off offset:-8
	global_load_b64 v[10:11], v[10:11], off
	v_add_co_u32 v4, vcc_lo, v4, s14
	v_add_co_ci_u32_e32 v5, vcc_lo, s15, v5, vcc_lo
	s_lshl_b64 s[10:11], s[14:15], 1
	s_add_u32 s2, s8, s2
	s_delay_alu instid0(VALU_DEP_2) | instskip(NEXT) | instid1(VALU_DEP_2)
	v_sub_co_u32 v4, vcc_lo, v4, s10
	v_subrev_co_ci_u32_e32 v5, vcc_lo, s11, v5, vcc_lo
	v_add_co_u32 v12, vcc_lo, v14, s4
	v_add_co_ci_u32_e32 v13, vcc_lo, s5, v15, vcc_lo
	s_delay_alu instid0(VALU_DEP_3) | instskip(SKIP_1) | instid1(VALU_DEP_1)
	v_lshlrev_b64 v[4:5], 3, v[4:5]
	s_addc_u32 s3, s9, s3
	v_add_co_u32 v18, vcc_lo, s2, v4
	s_delay_alu instid0(VALU_DEP_2) | instskip(SKIP_2) | instid1(VALU_DEP_4)
	v_add_co_ci_u32_e32 v19, vcc_lo, s3, v5, vcc_lo
	v_add_co_u32 v4, vcc_lo, v12, v6
	v_add_co_ci_u32_e32 v5, vcc_lo, v13, v7, vcc_lo
	v_add_co_u32 v12, vcc_lo, v18, v6
	s_delay_alu instid0(VALU_DEP_4)
	v_add_co_ci_u32_e32 v13, vcc_lo, v19, v7, vcc_lo
	s_clause 0x1
	global_load_b64 v[4:5], v[4:5], off
	global_load_b64 v[12:13], v[12:13], off
	v_add_co_u32 v14, vcc_lo, v14, s6
	v_add_co_ci_u32_e32 v15, vcc_lo, s7, v15, vcc_lo
	s_load_b128 s[4:7], s[0:1], 0x68
	s_delay_alu instid0(VALU_DEP_2) | instskip(NEXT) | instid1(VALU_DEP_2)
	v_add_co_u32 v14, vcc_lo, v14, v6
	v_add_co_ci_u32_e32 v15, vcc_lo, v15, v7, vcc_lo
	s_clause 0x1
	global_load_b64 v[14:15], v[14:15], off
	global_load_b64 v[8:9], v[8:9], off offset:8
	s_load_b64 s[0:1], s[0:1], 0x48
	s_waitcnt lgkmcnt(0)
	s_mul_i32 s2, s4, s16
	s_mul_hi_u32 s3, s4, s18
	s_delay_alu instid0(SALU_CYCLE_1) | instskip(SKIP_1) | instid1(SALU_CYCLE_1)
	s_add_i32 s2, s3, s2
	s_mul_i32 s3, s5, s18
	s_add_i32 s3, s2, s3
	s_mul_i32 s2, s4, s18
	s_delay_alu instid0(SALU_CYCLE_1) | instskip(NEXT) | instid1(SALU_CYCLE_1)
	s_lshl_b64 s[2:3], s[2:3], 3
	s_add_u32 s0, s2, s0
	s_addc_u32 s1, s3, s1
	s_waitcnt vmcnt(4)
	v_fma_f64 v[10:11], v[2:3], -2.0, v[10:11]
	s_waitcnt vmcnt(3)
	v_fma_f64 v[4:5], v[2:3], -2.0, v[4:5]
	s_waitcnt vmcnt(2)
	s_delay_alu instid0(VALU_DEP_2) | instskip(SKIP_2) | instid1(VALU_DEP_3)
	v_add_f64 v[10:11], v[10:11], v[12:13]
	s_waitcnt vmcnt(0)
	v_fma_f64 v[8:9], v[2:3], -2.0, v[8:9]
	v_add_f64 v[4:5], v[14:15], v[4:5]
	s_delay_alu instid0(VALU_DEP_3) | instskip(NEXT) | instid1(VALU_DEP_3)
	v_ldexp_f64 v[10:11], v[10:11], -3
	v_add_f64 v[0:1], v[8:9], v[0:1]
	s_delay_alu instid0(VALU_DEP_2) | instskip(NEXT) | instid1(VALU_DEP_1)
	v_fma_f64 v[4:5], 0x3fc00000, v[4:5], v[10:11]
	v_fma_f64 v[0:1], 0x3fc00000, v[0:1], v[4:5]
	v_mul_lo_u32 v4, s7, v16
	v_mul_lo_u32 v5, s6, v17
	s_delay_alu instid0(VALU_DEP_3) | instskip(SKIP_1) | instid1(VALU_DEP_1)
	v_add_f64 v[0:1], v[2:3], v[0:1]
	v_mad_u64_u32 v[2:3], null, s6, v16, 0
	v_add3_u32 v3, v3, v5, v4
	s_delay_alu instid0(VALU_DEP_1) | instskip(NEXT) | instid1(VALU_DEP_1)
	v_lshlrev_b64 v[2:3], 3, v[2:3]
	v_add_co_u32 v2, vcc_lo, s0, v2
	s_delay_alu instid0(VALU_DEP_2) | instskip(NEXT) | instid1(VALU_DEP_2)
	v_add_co_ci_u32_e32 v3, vcc_lo, s1, v3, vcc_lo
	v_add_co_u32 v2, vcc_lo, v2, v6
	s_delay_alu instid0(VALU_DEP_2)
	v_add_co_ci_u32_e32 v3, vcc_lo, v3, v7, vcc_lo
	global_store_b64 v[2:3], v[0:1], off
.LBB4_2:
	s_nop 0
	s_sendmsg sendmsg(MSG_DEALLOC_VGPRS)
	s_endpgm
	.section	.rodata,"a",@progbits
	.p2align	6, 0x0
	.amdhsa_kernel _ZN4RAJA8internal22HipKernelLauncherFixedILi256ENS0_8LoopDataIN4camp5tupleIJNS_4SpanINS_9Iterators16numeric_iteratorIllPlEElEESA_SA_EEENS4_IJEEENS3_9resources2v13HipEJZN8rajaperf9polybench17POLYBENCH_HEAT_3D17runHipVariantImplILm256EEEvNSG_9VariantIDEEUllllE1_EEENS0_24HipStatementListExecutorISM_NS3_4listIJNS_9statement3ForILl0ENS_6policy3hip11hip_indexerINS_17iteration_mapping6DirectELNS_23kernel_sync_requirementE0EJNS_3hip11IndexGlobalILNS_9named_dimE2ELin1ELi0EEEEEEJNSQ_ILl1ENST_ISV_LSW_0EJNSY_ILSZ_1ELi8ELi0EEEEEEJNSQ_ILl2ENST_ISV_LSW_0EJNSY_ILSZ_0ELi32ELi0EEEEEEJNSP_6LambdaILl0EJEEEEEEEEEEEEEEENS0_9LoopTypesINSO_IJvvvEEES1D_EEEEEEvT0_
		.amdhsa_group_segment_fixed_size 0
		.amdhsa_private_segment_fixed_size 0
		.amdhsa_kernarg_size 320
		.amdhsa_user_sgpr_count 13
		.amdhsa_user_sgpr_dispatch_ptr 0
		.amdhsa_user_sgpr_queue_ptr 0
		.amdhsa_user_sgpr_kernarg_segment_ptr 1
		.amdhsa_user_sgpr_dispatch_id 0
		.amdhsa_user_sgpr_private_segment_size 0
		.amdhsa_wavefront_size32 1
		.amdhsa_uses_dynamic_stack 0
		.amdhsa_enable_private_segment 0
		.amdhsa_system_sgpr_workgroup_id_x 1
		.amdhsa_system_sgpr_workgroup_id_y 1
		.amdhsa_system_sgpr_workgroup_id_z 1
		.amdhsa_system_sgpr_workgroup_info 0
		.amdhsa_system_vgpr_workitem_id 1
		.amdhsa_next_free_vgpr 20
		.amdhsa_next_free_sgpr 22
		.amdhsa_reserve_vcc 1
		.amdhsa_float_round_mode_32 0
		.amdhsa_float_round_mode_16_64 0
		.amdhsa_float_denorm_mode_32 3
		.amdhsa_float_denorm_mode_16_64 3
		.amdhsa_dx10_clamp 1
		.amdhsa_ieee_mode 1
		.amdhsa_fp16_overflow 0
		.amdhsa_workgroup_processor_mode 1
		.amdhsa_memory_ordered 1
		.amdhsa_forward_progress 0
		.amdhsa_shared_vgpr_count 0
		.amdhsa_exception_fp_ieee_invalid_op 0
		.amdhsa_exception_fp_denorm_src 0
		.amdhsa_exception_fp_ieee_div_zero 0
		.amdhsa_exception_fp_ieee_overflow 0
		.amdhsa_exception_fp_ieee_underflow 0
		.amdhsa_exception_fp_ieee_inexact 0
		.amdhsa_exception_int_div_zero 0
	.end_amdhsa_kernel
	.section	.text._ZN4RAJA8internal22HipKernelLauncherFixedILi256ENS0_8LoopDataIN4camp5tupleIJNS_4SpanINS_9Iterators16numeric_iteratorIllPlEElEESA_SA_EEENS4_IJEEENS3_9resources2v13HipEJZN8rajaperf9polybench17POLYBENCH_HEAT_3D17runHipVariantImplILm256EEEvNSG_9VariantIDEEUllllE1_EEENS0_24HipStatementListExecutorISM_NS3_4listIJNS_9statement3ForILl0ENS_6policy3hip11hip_indexerINS_17iteration_mapping6DirectELNS_23kernel_sync_requirementE0EJNS_3hip11IndexGlobalILNS_9named_dimE2ELin1ELi0EEEEEEJNSQ_ILl1ENST_ISV_LSW_0EJNSY_ILSZ_1ELi8ELi0EEEEEEJNSQ_ILl2ENST_ISV_LSW_0EJNSY_ILSZ_0ELi32ELi0EEEEEEJNSP_6LambdaILl0EJEEEEEEEEEEEEEEENS0_9LoopTypesINSO_IJvvvEEES1D_EEEEEEvT0_,"axG",@progbits,_ZN4RAJA8internal22HipKernelLauncherFixedILi256ENS0_8LoopDataIN4camp5tupleIJNS_4SpanINS_9Iterators16numeric_iteratorIllPlEElEESA_SA_EEENS4_IJEEENS3_9resources2v13HipEJZN8rajaperf9polybench17POLYBENCH_HEAT_3D17runHipVariantImplILm256EEEvNSG_9VariantIDEEUllllE1_EEENS0_24HipStatementListExecutorISM_NS3_4listIJNS_9statement3ForILl0ENS_6policy3hip11hip_indexerINS_17iteration_mapping6DirectELNS_23kernel_sync_requirementE0EJNS_3hip11IndexGlobalILNS_9named_dimE2ELin1ELi0EEEEEEJNSQ_ILl1ENST_ISV_LSW_0EJNSY_ILSZ_1ELi8ELi0EEEEEEJNSQ_ILl2ENST_ISV_LSW_0EJNSY_ILSZ_0ELi32ELi0EEEEEEJNSP_6LambdaILl0EJEEEEEEEEEEEEEEENS0_9LoopTypesINSO_IJvvvEEES1D_EEEEEEvT0_,comdat
.Lfunc_end4:
	.size	_ZN4RAJA8internal22HipKernelLauncherFixedILi256ENS0_8LoopDataIN4camp5tupleIJNS_4SpanINS_9Iterators16numeric_iteratorIllPlEElEESA_SA_EEENS4_IJEEENS3_9resources2v13HipEJZN8rajaperf9polybench17POLYBENCH_HEAT_3D17runHipVariantImplILm256EEEvNSG_9VariantIDEEUllllE1_EEENS0_24HipStatementListExecutorISM_NS3_4listIJNS_9statement3ForILl0ENS_6policy3hip11hip_indexerINS_17iteration_mapping6DirectELNS_23kernel_sync_requirementE0EJNS_3hip11IndexGlobalILNS_9named_dimE2ELin1ELi0EEEEEEJNSQ_ILl1ENST_ISV_LSW_0EJNSY_ILSZ_1ELi8ELi0EEEEEEJNSQ_ILl2ENST_ISV_LSW_0EJNSY_ILSZ_0ELi32ELi0EEEEEEJNSP_6LambdaILl0EJEEEEEEEEEEEEEEENS0_9LoopTypesINSO_IJvvvEEES1D_EEEEEEvT0_, .Lfunc_end4-_ZN4RAJA8internal22HipKernelLauncherFixedILi256ENS0_8LoopDataIN4camp5tupleIJNS_4SpanINS_9Iterators16numeric_iteratorIllPlEElEESA_SA_EEENS4_IJEEENS3_9resources2v13HipEJZN8rajaperf9polybench17POLYBENCH_HEAT_3D17runHipVariantImplILm256EEEvNSG_9VariantIDEEUllllE1_EEENS0_24HipStatementListExecutorISM_NS3_4listIJNS_9statement3ForILl0ENS_6policy3hip11hip_indexerINS_17iteration_mapping6DirectELNS_23kernel_sync_requirementE0EJNS_3hip11IndexGlobalILNS_9named_dimE2ELin1ELi0EEEEEEJNSQ_ILl1ENST_ISV_LSW_0EJNSY_ILSZ_1ELi8ELi0EEEEEEJNSQ_ILl2ENST_ISV_LSW_0EJNSY_ILSZ_0ELi32ELi0EEEEEEJNSP_6LambdaILl0EJEEEEEEEEEEEEEEENS0_9LoopTypesINSO_IJvvvEEES1D_EEEEEEvT0_
                                        ; -- End function
	.section	.AMDGPU.csdata,"",@progbits
; Kernel info:
; codeLenInByte = 908
; NumSgprs: 24
; NumVgprs: 20
; ScratchSize: 0
; MemoryBound: 0
; FloatMode: 240
; IeeeMode: 1
; LDSByteSize: 0 bytes/workgroup (compile time only)
; SGPRBlocks: 2
; VGPRBlocks: 2
; NumSGPRsForWavesPerEU: 24
; NumVGPRsForWavesPerEU: 20
; Occupancy: 16
; WaveLimiterHint : 1
; COMPUTE_PGM_RSRC2:SCRATCH_EN: 0
; COMPUTE_PGM_RSRC2:USER_SGPR: 13
; COMPUTE_PGM_RSRC2:TRAP_HANDLER: 0
; COMPUTE_PGM_RSRC2:TGID_X_EN: 1
; COMPUTE_PGM_RSRC2:TGID_Y_EN: 1
; COMPUTE_PGM_RSRC2:TGID_Z_EN: 1
; COMPUTE_PGM_RSRC2:TIDIG_COMP_CNT: 1
	.section	.text._ZN4RAJA8internal22HipKernelLauncherFixedILi256ENS0_8LoopDataIN4camp5tupleIJNS_4SpanINS_9Iterators16numeric_iteratorIllPlEElEESA_SA_EEENS4_IJEEENS3_9resources2v13HipEJZN8rajaperf9polybench17POLYBENCH_HEAT_3D17runHipVariantImplILm256EEEvNSG_9VariantIDEEUllllE2_EEENS0_24HipStatementListExecutorISM_NS3_4listIJNS_9statement3ForILl0ENS_6policy3hip11hip_indexerINS_17iteration_mapping6DirectELNS_23kernel_sync_requirementE0EJNS_3hip11IndexGlobalILNS_9named_dimE2ELin1ELi0EEEEEEJNSQ_ILl1ENST_ISV_LSW_0EJNSY_ILSZ_1ELi8ELi0EEEEEEJNSQ_ILl2ENST_ISV_LSW_0EJNSY_ILSZ_0ELi32ELi0EEEEEEJNSP_6LambdaILl0EJEEEEEEEEEEEEEEENS0_9LoopTypesINSO_IJvvvEEES1D_EEEEEEvT0_,"axG",@progbits,_ZN4RAJA8internal22HipKernelLauncherFixedILi256ENS0_8LoopDataIN4camp5tupleIJNS_4SpanINS_9Iterators16numeric_iteratorIllPlEElEESA_SA_EEENS4_IJEEENS3_9resources2v13HipEJZN8rajaperf9polybench17POLYBENCH_HEAT_3D17runHipVariantImplILm256EEEvNSG_9VariantIDEEUllllE2_EEENS0_24HipStatementListExecutorISM_NS3_4listIJNS_9statement3ForILl0ENS_6policy3hip11hip_indexerINS_17iteration_mapping6DirectELNS_23kernel_sync_requirementE0EJNS_3hip11IndexGlobalILNS_9named_dimE2ELin1ELi0EEEEEEJNSQ_ILl1ENST_ISV_LSW_0EJNSY_ILSZ_1ELi8ELi0EEEEEEJNSQ_ILl2ENST_ISV_LSW_0EJNSY_ILSZ_0ELi32ELi0EEEEEEJNSP_6LambdaILl0EJEEEEEEEEEEEEEEENS0_9LoopTypesINSO_IJvvvEEES1D_EEEEEEvT0_,comdat
	.protected	_ZN4RAJA8internal22HipKernelLauncherFixedILi256ENS0_8LoopDataIN4camp5tupleIJNS_4SpanINS_9Iterators16numeric_iteratorIllPlEElEESA_SA_EEENS4_IJEEENS3_9resources2v13HipEJZN8rajaperf9polybench17POLYBENCH_HEAT_3D17runHipVariantImplILm256EEEvNSG_9VariantIDEEUllllE2_EEENS0_24HipStatementListExecutorISM_NS3_4listIJNS_9statement3ForILl0ENS_6policy3hip11hip_indexerINS_17iteration_mapping6DirectELNS_23kernel_sync_requirementE0EJNS_3hip11IndexGlobalILNS_9named_dimE2ELin1ELi0EEEEEEJNSQ_ILl1ENST_ISV_LSW_0EJNSY_ILSZ_1ELi8ELi0EEEEEEJNSQ_ILl2ENST_ISV_LSW_0EJNSY_ILSZ_0ELi32ELi0EEEEEEJNSP_6LambdaILl0EJEEEEEEEEEEEEEEENS0_9LoopTypesINSO_IJvvvEEES1D_EEEEEEvT0_ ; -- Begin function _ZN4RAJA8internal22HipKernelLauncherFixedILi256ENS0_8LoopDataIN4camp5tupleIJNS_4SpanINS_9Iterators16numeric_iteratorIllPlEElEESA_SA_EEENS4_IJEEENS3_9resources2v13HipEJZN8rajaperf9polybench17POLYBENCH_HEAT_3D17runHipVariantImplILm256EEEvNSG_9VariantIDEEUllllE2_EEENS0_24HipStatementListExecutorISM_NS3_4listIJNS_9statement3ForILl0ENS_6policy3hip11hip_indexerINS_17iteration_mapping6DirectELNS_23kernel_sync_requirementE0EJNS_3hip11IndexGlobalILNS_9named_dimE2ELin1ELi0EEEEEEJNSQ_ILl1ENST_ISV_LSW_0EJNSY_ILSZ_1ELi8ELi0EEEEEEJNSQ_ILl2ENST_ISV_LSW_0EJNSY_ILSZ_0ELi32ELi0EEEEEEJNSP_6LambdaILl0EJEEEEEEEEEEEEEEENS0_9LoopTypesINSO_IJvvvEEES1D_EEEEEEvT0_
	.globl	_ZN4RAJA8internal22HipKernelLauncherFixedILi256ENS0_8LoopDataIN4camp5tupleIJNS_4SpanINS_9Iterators16numeric_iteratorIllPlEElEESA_SA_EEENS4_IJEEENS3_9resources2v13HipEJZN8rajaperf9polybench17POLYBENCH_HEAT_3D17runHipVariantImplILm256EEEvNSG_9VariantIDEEUllllE2_EEENS0_24HipStatementListExecutorISM_NS3_4listIJNS_9statement3ForILl0ENS_6policy3hip11hip_indexerINS_17iteration_mapping6DirectELNS_23kernel_sync_requirementE0EJNS_3hip11IndexGlobalILNS_9named_dimE2ELin1ELi0EEEEEEJNSQ_ILl1ENST_ISV_LSW_0EJNSY_ILSZ_1ELi8ELi0EEEEEEJNSQ_ILl2ENST_ISV_LSW_0EJNSY_ILSZ_0ELi32ELi0EEEEEEJNSP_6LambdaILl0EJEEEEEEEEEEEEEEENS0_9LoopTypesINSO_IJvvvEEES1D_EEEEEEvT0_
	.p2align	8
	.type	_ZN4RAJA8internal22HipKernelLauncherFixedILi256ENS0_8LoopDataIN4camp5tupleIJNS_4SpanINS_9Iterators16numeric_iteratorIllPlEElEESA_SA_EEENS4_IJEEENS3_9resources2v13HipEJZN8rajaperf9polybench17POLYBENCH_HEAT_3D17runHipVariantImplILm256EEEvNSG_9VariantIDEEUllllE2_EEENS0_24HipStatementListExecutorISM_NS3_4listIJNS_9statement3ForILl0ENS_6policy3hip11hip_indexerINS_17iteration_mapping6DirectELNS_23kernel_sync_requirementE0EJNS_3hip11IndexGlobalILNS_9named_dimE2ELin1ELi0EEEEEEJNSQ_ILl1ENST_ISV_LSW_0EJNSY_ILSZ_1ELi8ELi0EEEEEEJNSQ_ILl2ENST_ISV_LSW_0EJNSY_ILSZ_0ELi32ELi0EEEEEEJNSP_6LambdaILl0EJEEEEEEEEEEEEEEENS0_9LoopTypesINSO_IJvvvEEES1D_EEEEEEvT0_,@function
_ZN4RAJA8internal22HipKernelLauncherFixedILi256ENS0_8LoopDataIN4camp5tupleIJNS_4SpanINS_9Iterators16numeric_iteratorIllPlEElEESA_SA_EEENS4_IJEEENS3_9resources2v13HipEJZN8rajaperf9polybench17POLYBENCH_HEAT_3D17runHipVariantImplILm256EEEvNSG_9VariantIDEEUllllE2_EEENS0_24HipStatementListExecutorISM_NS3_4listIJNS_9statement3ForILl0ENS_6policy3hip11hip_indexerINS_17iteration_mapping6DirectELNS_23kernel_sync_requirementE0EJNS_3hip11IndexGlobalILNS_9named_dimE2ELin1ELi0EEEEEEJNSQ_ILl1ENST_ISV_LSW_0EJNSY_ILSZ_1ELi8ELi0EEEEEEJNSQ_ILl2ENST_ISV_LSW_0EJNSY_ILSZ_0ELi32ELi0EEEEEEJNSP_6LambdaILl0EJEEEEEEEEEEEEEEENS0_9LoopTypesINSO_IJvvvEEES1D_EEEEEEvT0_: ; @_ZN4RAJA8internal22HipKernelLauncherFixedILi256ENS0_8LoopDataIN4camp5tupleIJNS_4SpanINS_9Iterators16numeric_iteratorIllPlEElEESA_SA_EEENS4_IJEEENS3_9resources2v13HipEJZN8rajaperf9polybench17POLYBENCH_HEAT_3D17runHipVariantImplILm256EEEvNSG_9VariantIDEEUllllE2_EEENS0_24HipStatementListExecutorISM_NS3_4listIJNS_9statement3ForILl0ENS_6policy3hip11hip_indexerINS_17iteration_mapping6DirectELNS_23kernel_sync_requirementE0EJNS_3hip11IndexGlobalILNS_9named_dimE2ELin1ELi0EEEEEEJNSQ_ILl1ENST_ISV_LSW_0EJNSY_ILSZ_1ELi8ELi0EEEEEEJNSQ_ILl2ENST_ISV_LSW_0EJNSY_ILSZ_0ELi32ELi0EEEEEEJNSP_6LambdaILl0EJEEEEEEEEEEEEEEENS0_9LoopTypesINSO_IJvvvEEES1D_EEEEEEvT0_
; %bb.0:
	s_clause 0x1
	s_load_b256 s[4:11], s[0:1], 0x0
	s_load_b128 s[16:19], s[0:1], 0x20
	s_mov_b32 s21, 0
	s_mov_b32 s20, s15
	;; [unrolled: 1-line block ×3, first 2 shown]
	v_bfe_u32 v1, v0, 10, 10
	v_and_b32_e32 v2, 0x3ff, v0
	s_mov_b32 s2, s13
	s_mov_b32 s3, s21
	s_waitcnt lgkmcnt(0)
	s_sub_u32 s6, s6, s4
	s_subb_u32 s7, s7, s5
	s_sub_u32 s10, s10, s8
	s_subb_u32 s11, s11, s9
	s_lshl_b64 s[12:13], s[14:15], 3
	s_sub_u32 s14, s18, s16
	s_subb_u32 s15, s19, s17
	s_lshl_b64 s[2:3], s[2:3], 5
	v_add_co_u32 v0, s12, s12, v1
	v_add_co_u32 v2, s2, s2, v2
	v_add_co_ci_u32_e64 v1, null, s13, 0, s12
	v_add_co_ci_u32_e64 v3, null, s3, 0, s2
	v_cmp_gt_i64_e64 s3, s[6:7], s[20:21]
	s_delay_alu instid0(VALU_DEP_3) | instskip(NEXT) | instid1(VALU_DEP_3)
	v_cmp_gt_i64_e32 vcc_lo, s[10:11], v[0:1]
	v_cmp_gt_i64_e64 s2, s[14:15], v[2:3]
	s_delay_alu instid0(VALU_DEP_1)
	s_and_b32 s2, vcc_lo, s2
	s_delay_alu instid0(VALU_DEP_3) | instid1(SALU_CYCLE_1)
	s_and_b32 s2, s2, s3
	s_delay_alu instid0(SALU_CYCLE_1)
	s_and_saveexec_b32 s3, s2
	s_cbranch_execz .LBB5_2
; %bb.1:
	s_clause 0x1
	s_load_b128 s[12:15], s[0:1], 0xd0
	s_load_b64 s[2:3], s[0:1], 0xb0
	v_add_co_u32 v16, vcc_lo, s8, v0
	v_add_co_ci_u32_e32 v17, vcc_lo, s9, v1, vcc_lo
	v_add_co_u32 v0, vcc_lo, s16, v2
	v_add_co_ci_u32_e32 v1, vcc_lo, s17, v3, vcc_lo
	s_add_u32 s18, s4, s20
	s_addc_u32 s16, s5, 0
	s_add_u32 s4, s18, 1
	s_delay_alu instid0(VALU_DEP_1)
	v_lshlrev_b64 v[6:7], 3, v[0:1]
	s_addc_u32 s5, s16, 0
	s_waitcnt lgkmcnt(0)
	v_mul_lo_u32 v2, s15, v16
	v_mul_lo_u32 v3, s14, v17
	v_mad_u64_u32 v[4:5], null, s14, v16, 0
	s_mul_i32 s5, s12, s5
	s_mul_hi_u32 s7, s12, s4
	s_mul_i32 s9, s12, s16
	s_mul_hi_u32 s10, s12, s18
	s_mul_i32 s11, s13, s18
	s_add_i32 s5, s7, s5
	s_delay_alu instid0(VALU_DEP_1)
	v_add3_u32 v5, v5, v3, v2
	s_add_i32 s7, s10, s9
	s_mul_i32 s8, s13, s4
	s_mul_i32 s6, s12, s18
	s_add_i32 s7, s7, s11
	v_lshlrev_b64 v[0:1], 3, v[4:5]
	s_add_i32 s5, s5, s8
	s_lshl_b64 s[8:9], s[6:7], 3
	s_mul_i32 s4, s12, s4
	s_delay_alu instid0(SALU_CYCLE_1) | instskip(NEXT) | instid1(VALU_DEP_1)
	s_lshl_b64 s[4:5], s[4:5], 3
	v_add_co_u32 v14, vcc_lo, s2, v0
	v_add_co_ci_u32_e32 v15, vcc_lo, s3, v1, vcc_lo
	s_sub_u32 s6, s6, s12
	s_delay_alu instid0(VALU_DEP_2) | instskip(NEXT) | instid1(VALU_DEP_2)
	v_add_co_u32 v0, vcc_lo, v14, s8
	v_add_co_ci_u32_e32 v1, vcc_lo, s9, v15, vcc_lo
	s_subb_u32 s7, s7, s13
	s_delay_alu instid0(VALU_DEP_2) | instskip(NEXT) | instid1(VALU_DEP_2)
	v_add_co_u32 v8, vcc_lo, v0, v6
	v_add_co_ci_u32_e32 v9, vcc_lo, v1, v7, vcc_lo
	s_lshl_b64 s[10:11], s[14:15], 3
	s_lshl_b64 s[6:7], s[6:7], 3
	s_delay_alu instid0(VALU_DEP_2) | instskip(NEXT) | instid1(VALU_DEP_2)
	v_add_co_u32 v10, vcc_lo, v8, s10
	v_add_co_ci_u32_e32 v11, vcc_lo, s11, v9, vcc_lo
	s_clause 0x1
	global_load_b128 v[0:3], v[8:9], off offset:-8
	global_load_b64 v[10:11], v[10:11], off
	v_add_co_u32 v4, vcc_lo, v4, s14
	v_add_co_ci_u32_e32 v5, vcc_lo, s15, v5, vcc_lo
	s_lshl_b64 s[10:11], s[14:15], 1
	s_add_u32 s2, s8, s2
	s_delay_alu instid0(VALU_DEP_2) | instskip(NEXT) | instid1(VALU_DEP_2)
	v_sub_co_u32 v4, vcc_lo, v4, s10
	v_subrev_co_ci_u32_e32 v5, vcc_lo, s11, v5, vcc_lo
	v_add_co_u32 v12, vcc_lo, v14, s4
	v_add_co_ci_u32_e32 v13, vcc_lo, s5, v15, vcc_lo
	s_delay_alu instid0(VALU_DEP_3) | instskip(SKIP_1) | instid1(VALU_DEP_1)
	v_lshlrev_b64 v[4:5], 3, v[4:5]
	s_addc_u32 s3, s9, s3
	v_add_co_u32 v18, vcc_lo, s2, v4
	s_delay_alu instid0(VALU_DEP_2) | instskip(SKIP_2) | instid1(VALU_DEP_4)
	v_add_co_ci_u32_e32 v19, vcc_lo, s3, v5, vcc_lo
	v_add_co_u32 v4, vcc_lo, v12, v6
	v_add_co_ci_u32_e32 v5, vcc_lo, v13, v7, vcc_lo
	v_add_co_u32 v12, vcc_lo, v18, v6
	s_delay_alu instid0(VALU_DEP_4)
	v_add_co_ci_u32_e32 v13, vcc_lo, v19, v7, vcc_lo
	s_clause 0x1
	global_load_b64 v[4:5], v[4:5], off
	global_load_b64 v[12:13], v[12:13], off
	v_add_co_u32 v14, vcc_lo, v14, s6
	v_add_co_ci_u32_e32 v15, vcc_lo, s7, v15, vcc_lo
	s_load_b128 s[4:7], s[0:1], 0x68
	s_delay_alu instid0(VALU_DEP_2) | instskip(NEXT) | instid1(VALU_DEP_2)
	v_add_co_u32 v14, vcc_lo, v14, v6
	v_add_co_ci_u32_e32 v15, vcc_lo, v15, v7, vcc_lo
	s_clause 0x1
	global_load_b64 v[14:15], v[14:15], off
	global_load_b64 v[8:9], v[8:9], off offset:8
	s_load_b64 s[0:1], s[0:1], 0x48
	s_waitcnt lgkmcnt(0)
	s_mul_i32 s2, s4, s16
	s_mul_hi_u32 s3, s4, s18
	s_delay_alu instid0(SALU_CYCLE_1) | instskip(SKIP_1) | instid1(SALU_CYCLE_1)
	s_add_i32 s2, s3, s2
	s_mul_i32 s3, s5, s18
	s_add_i32 s3, s2, s3
	s_mul_i32 s2, s4, s18
	s_delay_alu instid0(SALU_CYCLE_1) | instskip(NEXT) | instid1(SALU_CYCLE_1)
	s_lshl_b64 s[2:3], s[2:3], 3
	s_add_u32 s0, s2, s0
	s_addc_u32 s1, s3, s1
	s_waitcnt vmcnt(4)
	v_fma_f64 v[10:11], v[2:3], -2.0, v[10:11]
	s_waitcnt vmcnt(3)
	v_fma_f64 v[4:5], v[2:3], -2.0, v[4:5]
	s_waitcnt vmcnt(2)
	s_delay_alu instid0(VALU_DEP_2) | instskip(SKIP_2) | instid1(VALU_DEP_3)
	v_add_f64 v[10:11], v[10:11], v[12:13]
	s_waitcnt vmcnt(0)
	v_fma_f64 v[8:9], v[2:3], -2.0, v[8:9]
	v_add_f64 v[4:5], v[14:15], v[4:5]
	s_delay_alu instid0(VALU_DEP_3) | instskip(NEXT) | instid1(VALU_DEP_3)
	v_ldexp_f64 v[10:11], v[10:11], -3
	v_add_f64 v[0:1], v[8:9], v[0:1]
	s_delay_alu instid0(VALU_DEP_2) | instskip(NEXT) | instid1(VALU_DEP_1)
	v_fma_f64 v[4:5], 0x3fc00000, v[4:5], v[10:11]
	v_fma_f64 v[0:1], 0x3fc00000, v[0:1], v[4:5]
	v_mul_lo_u32 v4, s7, v16
	v_mul_lo_u32 v5, s6, v17
	s_delay_alu instid0(VALU_DEP_3) | instskip(SKIP_1) | instid1(VALU_DEP_1)
	v_add_f64 v[0:1], v[2:3], v[0:1]
	v_mad_u64_u32 v[2:3], null, s6, v16, 0
	v_add3_u32 v3, v3, v5, v4
	s_delay_alu instid0(VALU_DEP_1) | instskip(NEXT) | instid1(VALU_DEP_1)
	v_lshlrev_b64 v[2:3], 3, v[2:3]
	v_add_co_u32 v2, vcc_lo, s0, v2
	s_delay_alu instid0(VALU_DEP_2) | instskip(NEXT) | instid1(VALU_DEP_2)
	v_add_co_ci_u32_e32 v3, vcc_lo, s1, v3, vcc_lo
	v_add_co_u32 v2, vcc_lo, v2, v6
	s_delay_alu instid0(VALU_DEP_2)
	v_add_co_ci_u32_e32 v3, vcc_lo, v3, v7, vcc_lo
	global_store_b64 v[2:3], v[0:1], off
.LBB5_2:
	s_nop 0
	s_sendmsg sendmsg(MSG_DEALLOC_VGPRS)
	s_endpgm
	.section	.rodata,"a",@progbits
	.p2align	6, 0x0
	.amdhsa_kernel _ZN4RAJA8internal22HipKernelLauncherFixedILi256ENS0_8LoopDataIN4camp5tupleIJNS_4SpanINS_9Iterators16numeric_iteratorIllPlEElEESA_SA_EEENS4_IJEEENS3_9resources2v13HipEJZN8rajaperf9polybench17POLYBENCH_HEAT_3D17runHipVariantImplILm256EEEvNSG_9VariantIDEEUllllE2_EEENS0_24HipStatementListExecutorISM_NS3_4listIJNS_9statement3ForILl0ENS_6policy3hip11hip_indexerINS_17iteration_mapping6DirectELNS_23kernel_sync_requirementE0EJNS_3hip11IndexGlobalILNS_9named_dimE2ELin1ELi0EEEEEEJNSQ_ILl1ENST_ISV_LSW_0EJNSY_ILSZ_1ELi8ELi0EEEEEEJNSQ_ILl2ENST_ISV_LSW_0EJNSY_ILSZ_0ELi32ELi0EEEEEEJNSP_6LambdaILl0EJEEEEEEEEEEEEEEENS0_9LoopTypesINSO_IJvvvEEES1D_EEEEEEvT0_
		.amdhsa_group_segment_fixed_size 0
		.amdhsa_private_segment_fixed_size 0
		.amdhsa_kernarg_size 320
		.amdhsa_user_sgpr_count 13
		.amdhsa_user_sgpr_dispatch_ptr 0
		.amdhsa_user_sgpr_queue_ptr 0
		.amdhsa_user_sgpr_kernarg_segment_ptr 1
		.amdhsa_user_sgpr_dispatch_id 0
		.amdhsa_user_sgpr_private_segment_size 0
		.amdhsa_wavefront_size32 1
		.amdhsa_uses_dynamic_stack 0
		.amdhsa_enable_private_segment 0
		.amdhsa_system_sgpr_workgroup_id_x 1
		.amdhsa_system_sgpr_workgroup_id_y 1
		.amdhsa_system_sgpr_workgroup_id_z 1
		.amdhsa_system_sgpr_workgroup_info 0
		.amdhsa_system_vgpr_workitem_id 1
		.amdhsa_next_free_vgpr 20
		.amdhsa_next_free_sgpr 22
		.amdhsa_reserve_vcc 1
		.amdhsa_float_round_mode_32 0
		.amdhsa_float_round_mode_16_64 0
		.amdhsa_float_denorm_mode_32 3
		.amdhsa_float_denorm_mode_16_64 3
		.amdhsa_dx10_clamp 1
		.amdhsa_ieee_mode 1
		.amdhsa_fp16_overflow 0
		.amdhsa_workgroup_processor_mode 1
		.amdhsa_memory_ordered 1
		.amdhsa_forward_progress 0
		.amdhsa_shared_vgpr_count 0
		.amdhsa_exception_fp_ieee_invalid_op 0
		.amdhsa_exception_fp_denorm_src 0
		.amdhsa_exception_fp_ieee_div_zero 0
		.amdhsa_exception_fp_ieee_overflow 0
		.amdhsa_exception_fp_ieee_underflow 0
		.amdhsa_exception_fp_ieee_inexact 0
		.amdhsa_exception_int_div_zero 0
	.end_amdhsa_kernel
	.section	.text._ZN4RAJA8internal22HipKernelLauncherFixedILi256ENS0_8LoopDataIN4camp5tupleIJNS_4SpanINS_9Iterators16numeric_iteratorIllPlEElEESA_SA_EEENS4_IJEEENS3_9resources2v13HipEJZN8rajaperf9polybench17POLYBENCH_HEAT_3D17runHipVariantImplILm256EEEvNSG_9VariantIDEEUllllE2_EEENS0_24HipStatementListExecutorISM_NS3_4listIJNS_9statement3ForILl0ENS_6policy3hip11hip_indexerINS_17iteration_mapping6DirectELNS_23kernel_sync_requirementE0EJNS_3hip11IndexGlobalILNS_9named_dimE2ELin1ELi0EEEEEEJNSQ_ILl1ENST_ISV_LSW_0EJNSY_ILSZ_1ELi8ELi0EEEEEEJNSQ_ILl2ENST_ISV_LSW_0EJNSY_ILSZ_0ELi32ELi0EEEEEEJNSP_6LambdaILl0EJEEEEEEEEEEEEEEENS0_9LoopTypesINSO_IJvvvEEES1D_EEEEEEvT0_,"axG",@progbits,_ZN4RAJA8internal22HipKernelLauncherFixedILi256ENS0_8LoopDataIN4camp5tupleIJNS_4SpanINS_9Iterators16numeric_iteratorIllPlEElEESA_SA_EEENS4_IJEEENS3_9resources2v13HipEJZN8rajaperf9polybench17POLYBENCH_HEAT_3D17runHipVariantImplILm256EEEvNSG_9VariantIDEEUllllE2_EEENS0_24HipStatementListExecutorISM_NS3_4listIJNS_9statement3ForILl0ENS_6policy3hip11hip_indexerINS_17iteration_mapping6DirectELNS_23kernel_sync_requirementE0EJNS_3hip11IndexGlobalILNS_9named_dimE2ELin1ELi0EEEEEEJNSQ_ILl1ENST_ISV_LSW_0EJNSY_ILSZ_1ELi8ELi0EEEEEEJNSQ_ILl2ENST_ISV_LSW_0EJNSY_ILSZ_0ELi32ELi0EEEEEEJNSP_6LambdaILl0EJEEEEEEEEEEEEEEENS0_9LoopTypesINSO_IJvvvEEES1D_EEEEEEvT0_,comdat
.Lfunc_end5:
	.size	_ZN4RAJA8internal22HipKernelLauncherFixedILi256ENS0_8LoopDataIN4camp5tupleIJNS_4SpanINS_9Iterators16numeric_iteratorIllPlEElEESA_SA_EEENS4_IJEEENS3_9resources2v13HipEJZN8rajaperf9polybench17POLYBENCH_HEAT_3D17runHipVariantImplILm256EEEvNSG_9VariantIDEEUllllE2_EEENS0_24HipStatementListExecutorISM_NS3_4listIJNS_9statement3ForILl0ENS_6policy3hip11hip_indexerINS_17iteration_mapping6DirectELNS_23kernel_sync_requirementE0EJNS_3hip11IndexGlobalILNS_9named_dimE2ELin1ELi0EEEEEEJNSQ_ILl1ENST_ISV_LSW_0EJNSY_ILSZ_1ELi8ELi0EEEEEEJNSQ_ILl2ENST_ISV_LSW_0EJNSY_ILSZ_0ELi32ELi0EEEEEEJNSP_6LambdaILl0EJEEEEEEEEEEEEEEENS0_9LoopTypesINSO_IJvvvEEES1D_EEEEEEvT0_, .Lfunc_end5-_ZN4RAJA8internal22HipKernelLauncherFixedILi256ENS0_8LoopDataIN4camp5tupleIJNS_4SpanINS_9Iterators16numeric_iteratorIllPlEElEESA_SA_EEENS4_IJEEENS3_9resources2v13HipEJZN8rajaperf9polybench17POLYBENCH_HEAT_3D17runHipVariantImplILm256EEEvNSG_9VariantIDEEUllllE2_EEENS0_24HipStatementListExecutorISM_NS3_4listIJNS_9statement3ForILl0ENS_6policy3hip11hip_indexerINS_17iteration_mapping6DirectELNS_23kernel_sync_requirementE0EJNS_3hip11IndexGlobalILNS_9named_dimE2ELin1ELi0EEEEEEJNSQ_ILl1ENST_ISV_LSW_0EJNSY_ILSZ_1ELi8ELi0EEEEEEJNSQ_ILl2ENST_ISV_LSW_0EJNSY_ILSZ_0ELi32ELi0EEEEEEJNSP_6LambdaILl0EJEEEEEEEEEEEEEEENS0_9LoopTypesINSO_IJvvvEEES1D_EEEEEEvT0_
                                        ; -- End function
	.section	.AMDGPU.csdata,"",@progbits
; Kernel info:
; codeLenInByte = 908
; NumSgprs: 24
; NumVgprs: 20
; ScratchSize: 0
; MemoryBound: 0
; FloatMode: 240
; IeeeMode: 1
; LDSByteSize: 0 bytes/workgroup (compile time only)
; SGPRBlocks: 2
; VGPRBlocks: 2
; NumSGPRsForWavesPerEU: 24
; NumVGPRsForWavesPerEU: 20
; Occupancy: 16
; WaveLimiterHint : 1
; COMPUTE_PGM_RSRC2:SCRATCH_EN: 0
; COMPUTE_PGM_RSRC2:USER_SGPR: 13
; COMPUTE_PGM_RSRC2:TRAP_HANDLER: 0
; COMPUTE_PGM_RSRC2:TGID_X_EN: 1
; COMPUTE_PGM_RSRC2:TGID_Y_EN: 1
; COMPUTE_PGM_RSRC2:TGID_Z_EN: 1
; COMPUTE_PGM_RSRC2:TIDIG_COMP_CNT: 1
	.text
	.p2alignl 7, 3214868480
	.fill 96, 4, 3214868480
	.type	__hip_cuid_9e8d0c86e5f97b25,@object ; @__hip_cuid_9e8d0c86e5f97b25
	.section	.bss,"aw",@nobits
	.globl	__hip_cuid_9e8d0c86e5f97b25
__hip_cuid_9e8d0c86e5f97b25:
	.byte	0                               ; 0x0
	.size	__hip_cuid_9e8d0c86e5f97b25, 1

	.ident	"AMD clang version 19.0.0git (https://github.com/RadeonOpenCompute/llvm-project roc-6.4.0 25133 c7fe45cf4b819c5991fe208aaa96edf142730f1d)"
	.section	".note.GNU-stack","",@progbits
	.addrsig
	.addrsig_sym __hip_cuid_9e8d0c86e5f97b25
	.amdgpu_metadata
---
amdhsa.kernels:
  - .args:
      - .address_space:  global
        .offset:         0
        .size:           8
        .value_kind:     global_buffer
      - .address_space:  global
        .offset:         8
        .size:           8
        .value_kind:     global_buffer
      - .offset:         16
        .size:           8
        .value_kind:     by_value
    .group_segment_fixed_size: 0
    .kernarg_segment_align: 8
    .kernarg_segment_size: 24
    .language:       OpenCL C
    .language_version:
      - 2
      - 0
    .max_flat_workgroup_size: 256
    .name:           _ZN8rajaperf9polybench14poly_heat_3D_1ILm32ELm8ELm1EEEvPdS2_l
    .private_segment_fixed_size: 0
    .sgpr_count:     18
    .sgpr_spill_count: 0
    .symbol:         _ZN8rajaperf9polybench14poly_heat_3D_1ILm32ELm8ELm1EEEvPdS2_l.kd
    .uniform_work_group_size: 1
    .uses_dynamic_stack: false
    .vgpr_count:     25
    .vgpr_spill_count: 0
    .wavefront_size: 32
    .workgroup_processor_mode: 1
  - .args:
      - .address_space:  global
        .offset:         0
        .size:           8
        .value_kind:     global_buffer
      - .address_space:  global
        .offset:         8
        .size:           8
        .value_kind:     global_buffer
      - .offset:         16
        .size:           8
        .value_kind:     by_value
    .group_segment_fixed_size: 0
    .kernarg_segment_align: 8
    .kernarg_segment_size: 24
    .language:       OpenCL C
    .language_version:
      - 2
      - 0
    .max_flat_workgroup_size: 256
    .name:           _ZN8rajaperf9polybench14poly_heat_3D_2ILm32ELm8ELm1EEEvPdS2_l
    .private_segment_fixed_size: 0
    .sgpr_count:     18
    .sgpr_spill_count: 0
    .symbol:         _ZN8rajaperf9polybench14poly_heat_3D_2ILm32ELm8ELm1EEEvPdS2_l.kd
    .uniform_work_group_size: 1
    .uses_dynamic_stack: false
    .vgpr_count:     25
    .vgpr_spill_count: 0
    .wavefront_size: 32
    .workgroup_processor_mode: 1
  - .args:
      - .offset:         0
        .size:           8
        .value_kind:     by_value
      - .offset:         8
        .size:           24
        .value_kind:     by_value
    .group_segment_fixed_size: 0
    .kernarg_segment_align: 8
    .kernarg_segment_size: 32
    .language:       OpenCL C
    .language_version:
      - 2
      - 0
    .max_flat_workgroup_size: 256
    .name:           _ZN8rajaperf9polybench16poly_heat_3D_lamILm32ELm8ELm1EZNS0_17POLYBENCH_HEAT_3D17runHipVariantImplILm256EEEvNS_9VariantIDEEUllllE_EEvlT2_
    .private_segment_fixed_size: 0
    .sgpr_count:     18
    .sgpr_spill_count: 0
    .symbol:         _ZN8rajaperf9polybench16poly_heat_3D_lamILm32ELm8ELm1EZNS0_17POLYBENCH_HEAT_3D17runHipVariantImplILm256EEEvNS_9VariantIDEEUllllE_EEvlT2_.kd
    .uniform_work_group_size: 1
    .uses_dynamic_stack: false
    .vgpr_count:     23
    .vgpr_spill_count: 0
    .wavefront_size: 32
    .workgroup_processor_mode: 1
  - .args:
      - .offset:         0
        .size:           8
        .value_kind:     by_value
      - .offset:         8
        .size:           24
        .value_kind:     by_value
    .group_segment_fixed_size: 0
    .kernarg_segment_align: 8
    .kernarg_segment_size: 32
    .language:       OpenCL C
    .language_version:
      - 2
      - 0
    .max_flat_workgroup_size: 256
    .name:           _ZN8rajaperf9polybench16poly_heat_3D_lamILm32ELm8ELm1EZNS0_17POLYBENCH_HEAT_3D17runHipVariantImplILm256EEEvNS_9VariantIDEEUllllE0_EEvlT2_
    .private_segment_fixed_size: 0
    .sgpr_count:     18
    .sgpr_spill_count: 0
    .symbol:         _ZN8rajaperf9polybench16poly_heat_3D_lamILm32ELm8ELm1EZNS0_17POLYBENCH_HEAT_3D17runHipVariantImplILm256EEEvNS_9VariantIDEEUllllE0_EEvlT2_.kd
    .uniform_work_group_size: 1
    .uses_dynamic_stack: false
    .vgpr_count:     23
    .vgpr_spill_count: 0
    .wavefront_size: 32
    .workgroup_processor_mode: 1
  - .args:
      - .offset:         0
        .size:           320
        .value_kind:     by_value
    .group_segment_fixed_size: 0
    .kernarg_segment_align: 8
    .kernarg_segment_size: 320
    .language:       OpenCL C
    .language_version:
      - 2
      - 0
    .max_flat_workgroup_size: 256
    .name:           _ZN4RAJA8internal22HipKernelLauncherFixedILi256ENS0_8LoopDataIN4camp5tupleIJNS_4SpanINS_9Iterators16numeric_iteratorIllPlEElEESA_SA_EEENS4_IJEEENS3_9resources2v13HipEJZN8rajaperf9polybench17POLYBENCH_HEAT_3D17runHipVariantImplILm256EEEvNSG_9VariantIDEEUllllE1_EEENS0_24HipStatementListExecutorISM_NS3_4listIJNS_9statement3ForILl0ENS_6policy3hip11hip_indexerINS_17iteration_mapping6DirectELNS_23kernel_sync_requirementE0EJNS_3hip11IndexGlobalILNS_9named_dimE2ELin1ELi0EEEEEEJNSQ_ILl1ENST_ISV_LSW_0EJNSY_ILSZ_1ELi8ELi0EEEEEEJNSQ_ILl2ENST_ISV_LSW_0EJNSY_ILSZ_0ELi32ELi0EEEEEEJNSP_6LambdaILl0EJEEEEEEEEEEEEEEENS0_9LoopTypesINSO_IJvvvEEES1D_EEEEEEvT0_
    .private_segment_fixed_size: 0
    .sgpr_count:     24
    .sgpr_spill_count: 0
    .symbol:         _ZN4RAJA8internal22HipKernelLauncherFixedILi256ENS0_8LoopDataIN4camp5tupleIJNS_4SpanINS_9Iterators16numeric_iteratorIllPlEElEESA_SA_EEENS4_IJEEENS3_9resources2v13HipEJZN8rajaperf9polybench17POLYBENCH_HEAT_3D17runHipVariantImplILm256EEEvNSG_9VariantIDEEUllllE1_EEENS0_24HipStatementListExecutorISM_NS3_4listIJNS_9statement3ForILl0ENS_6policy3hip11hip_indexerINS_17iteration_mapping6DirectELNS_23kernel_sync_requirementE0EJNS_3hip11IndexGlobalILNS_9named_dimE2ELin1ELi0EEEEEEJNSQ_ILl1ENST_ISV_LSW_0EJNSY_ILSZ_1ELi8ELi0EEEEEEJNSQ_ILl2ENST_ISV_LSW_0EJNSY_ILSZ_0ELi32ELi0EEEEEEJNSP_6LambdaILl0EJEEEEEEEEEEEEEEENS0_9LoopTypesINSO_IJvvvEEES1D_EEEEEEvT0_.kd
    .uniform_work_group_size: 1
    .uses_dynamic_stack: false
    .vgpr_count:     20
    .vgpr_spill_count: 0
    .wavefront_size: 32
    .workgroup_processor_mode: 1
  - .args:
      - .offset:         0
        .size:           320
        .value_kind:     by_value
    .group_segment_fixed_size: 0
    .kernarg_segment_align: 8
    .kernarg_segment_size: 320
    .language:       OpenCL C
    .language_version:
      - 2
      - 0
    .max_flat_workgroup_size: 256
    .name:           _ZN4RAJA8internal22HipKernelLauncherFixedILi256ENS0_8LoopDataIN4camp5tupleIJNS_4SpanINS_9Iterators16numeric_iteratorIllPlEElEESA_SA_EEENS4_IJEEENS3_9resources2v13HipEJZN8rajaperf9polybench17POLYBENCH_HEAT_3D17runHipVariantImplILm256EEEvNSG_9VariantIDEEUllllE2_EEENS0_24HipStatementListExecutorISM_NS3_4listIJNS_9statement3ForILl0ENS_6policy3hip11hip_indexerINS_17iteration_mapping6DirectELNS_23kernel_sync_requirementE0EJNS_3hip11IndexGlobalILNS_9named_dimE2ELin1ELi0EEEEEEJNSQ_ILl1ENST_ISV_LSW_0EJNSY_ILSZ_1ELi8ELi0EEEEEEJNSQ_ILl2ENST_ISV_LSW_0EJNSY_ILSZ_0ELi32ELi0EEEEEEJNSP_6LambdaILl0EJEEEEEEEEEEEEEEENS0_9LoopTypesINSO_IJvvvEEES1D_EEEEEEvT0_
    .private_segment_fixed_size: 0
    .sgpr_count:     24
    .sgpr_spill_count: 0
    .symbol:         _ZN4RAJA8internal22HipKernelLauncherFixedILi256ENS0_8LoopDataIN4camp5tupleIJNS_4SpanINS_9Iterators16numeric_iteratorIllPlEElEESA_SA_EEENS4_IJEEENS3_9resources2v13HipEJZN8rajaperf9polybench17POLYBENCH_HEAT_3D17runHipVariantImplILm256EEEvNSG_9VariantIDEEUllllE2_EEENS0_24HipStatementListExecutorISM_NS3_4listIJNS_9statement3ForILl0ENS_6policy3hip11hip_indexerINS_17iteration_mapping6DirectELNS_23kernel_sync_requirementE0EJNS_3hip11IndexGlobalILNS_9named_dimE2ELin1ELi0EEEEEEJNSQ_ILl1ENST_ISV_LSW_0EJNSY_ILSZ_1ELi8ELi0EEEEEEJNSQ_ILl2ENST_ISV_LSW_0EJNSY_ILSZ_0ELi32ELi0EEEEEEJNSP_6LambdaILl0EJEEEEEEEEEEEEEEENS0_9LoopTypesINSO_IJvvvEEES1D_EEEEEEvT0_.kd
    .uniform_work_group_size: 1
    .uses_dynamic_stack: false
    .vgpr_count:     20
    .vgpr_spill_count: 0
    .wavefront_size: 32
    .workgroup_processor_mode: 1
amdhsa.target:   amdgcn-amd-amdhsa--gfx1100
amdhsa.version:
  - 1
  - 2
...

	.end_amdgpu_metadata
